;; amdgpu-corpus repo=ROCm/rocFFT kind=compiled arch=gfx950 opt=O3
	.text
	.amdgcn_target "amdgcn-amd-amdhsa--gfx950"
	.amdhsa_code_object_version 6
	.protected	fft_rtc_back_len208_factors_13_16_wgs_144_tpt_16_sp_op_CI_CI_sbcc_twdbase6_3step ; -- Begin function fft_rtc_back_len208_factors_13_16_wgs_144_tpt_16_sp_op_CI_CI_sbcc_twdbase6_3step
	.globl	fft_rtc_back_len208_factors_13_16_wgs_144_tpt_16_sp_op_CI_CI_sbcc_twdbase6_3step
	.p2align	8
	.type	fft_rtc_back_len208_factors_13_16_wgs_144_tpt_16_sp_op_CI_CI_sbcc_twdbase6_3step,@function
fft_rtc_back_len208_factors_13_16_wgs_144_tpt_16_sp_op_CI_CI_sbcc_twdbase6_3step: ; @fft_rtc_back_len208_factors_13_16_wgs_144_tpt_16_sp_op_CI_CI_sbcc_twdbase6_3step
; %bb.0:
	s_load_dwordx2 s[26:27], s[0:1], 0x0
	s_load_dwordx8 s[4:11], s[0:1], 0x8
	s_load_dwordx4 s[12:15], s[0:1], 0x60
	s_load_dwordx2 s[30:31], s[0:1], 0x28
	s_movk_i32 s0, 0xc0
	v_cmp_gt_u32_e32 vcc, s0, v0
	s_and_saveexec_b64 s[0:1], vcc
	s_cbranch_execz .LBB0_3
; %bb.1:
	s_movk_i32 s16, 0xff70
	v_mov_b32_e32 v1, 0
	s_mov_b32 s17, -1
	v_lshlrev_b32_e32 v6, 3, v0
	v_lshl_add_u64 v[2:3], v[0:1], 0, s[16:17]
	v_mov_b32_e32 v7, v1
	v_add_u32_e32 v1, 0, v6
	s_waitcnt lgkmcnt(0)
	v_lshl_add_u64 v[4:5], s[4:5], 0, v[6:7]
	v_add_u32_e32 v1, 0x3a80, v1
	s_mov_b64 s[4:5], 0
	s_mov_b64 s[16:17], 0x90
	;; [unrolled: 1-line block ×3, first 2 shown]
.LBB0_2:                                ; =>This Inner Loop Header: Depth=1
	global_load_dwordx2 v[6:7], v[4:5], off
	v_lshl_add_u64 v[2:3], v[2:3], 0, s[16:17]
	v_cmp_lt_u64_e32 vcc, 47, v[2:3]
	v_lshl_add_u64 v[4:5], v[4:5], 0, s[18:19]
	s_or_b64 s[4:5], vcc, s[4:5]
	s_waitcnt vmcnt(0)
	ds_write_b64 v1, v[6:7]
	v_add_u32_e32 v1, 0x480, v1
	s_andn2_b64 exec, exec, s[4:5]
	s_cbranch_execnz .LBB0_2
.LBB0_3:
	s_or_b64 exec, exec, s[0:1]
	s_waitcnt lgkmcnt(0)
	s_load_dwordx2 s[34:35], s[8:9], 0x8
	s_mov_b32 s3, 0
	s_mov_b64 s[24:25], 0
	s_waitcnt lgkmcnt(0)
	s_add_u32 s0, s34, -1
	s_addc_u32 s1, s35, -1
	s_add_u32 s4, 0, 0x71c4fc00
	s_addc_u32 s5, 0, 0x7c
	s_mul_hi_u32 s17, s4, -9
	s_add_i32 s5, s5, 0x1c71c6a0
	s_sub_i32 s17, s17, s4
	s_mul_i32 s20, s5, -9
	s_mul_i32 s16, s4, -9
	s_add_i32 s17, s17, s20
	s_mul_hi_u32 s18, s5, s16
	s_mul_i32 s19, s5, s16
	s_mul_i32 s21, s4, s17
	s_mul_hi_u32 s16, s4, s16
	s_mul_hi_u32 s20, s4, s17
	s_add_u32 s16, s16, s21
	s_addc_u32 s20, 0, s20
	s_add_u32 s16, s16, s19
	s_mul_hi_u32 s21, s5, s17
	s_addc_u32 s16, s20, s18
	s_addc_u32 s18, s21, 0
	s_mul_i32 s17, s5, s17
	s_add_u32 s16, s16, s17
	v_mov_b32_e32 v1, s16
	s_addc_u32 s17, 0, s18
	v_add_co_u32_e32 v1, vcc, s4, v1
	s_cmp_lg_u64 vcc, 0
	s_addc_u32 s4, s5, s17
	v_readfirstlane_b32 s17, v1
	s_mul_i32 s16, s0, s4
	s_mul_hi_u32 s18, s0, s17
	s_mul_hi_u32 s5, s0, s4
	s_add_u32 s16, s18, s16
	s_addc_u32 s5, 0, s5
	s_mul_hi_u32 s19, s1, s17
	s_mul_i32 s17, s1, s17
	s_add_u32 s16, s16, s17
	s_mul_hi_u32 s18, s1, s4
	s_addc_u32 s5, s5, s19
	s_addc_u32 s16, s18, 0
	s_mul_i32 s4, s1, s4
	s_add_u32 s4, s5, s4
	s_addc_u32 s5, 0, s16
	s_add_u32 s16, s4, 1
	s_addc_u32 s17, s5, 0
	s_add_u32 s18, s4, 2
	s_mul_i32 s20, s5, 9
	s_mul_hi_u32 s21, s4, 9
	s_addc_u32 s19, s5, 0
	s_add_i32 s21, s21, s20
	s_mul_i32 s20, s4, 9
	v_mov_b32_e32 v1, s20
	v_sub_co_u32_e32 v1, vcc, s0, v1
	s_cmp_lg_u64 vcc, 0
	s_subb_u32 s0, s1, s21
	v_subrev_co_u32_e32 v2, vcc, 9, v1
	s_cmp_lg_u64 vcc, 0
	s_subb_u32 s1, s0, 0
	v_readfirstlane_b32 s20, v2
	s_cmp_gt_u32 s20, 8
	s_cselect_b32 s20, -1, 0
	s_cmp_eq_u32 s1, 0
	s_cselect_b32 s1, s20, -1
	s_cmp_lg_u32 s1, 0
	s_cselect_b32 s1, s18, s16
	s_cselect_b32 s16, s19, s17
	v_readfirstlane_b32 s17, v1
	s_cmp_gt_u32 s17, 8
	s_cselect_b32 s17, -1, 0
	s_cmp_eq_u32 s0, 0
	s_cselect_b32 s0, s17, -1
	s_cmp_lg_u32 s0, 0
	s_cselect_b32 s1, s1, s4
	s_cselect_b32 s0, s16, s5
	s_add_u32 s38, s1, 1
	s_addc_u32 s39, s0, 0
	v_mov_b64_e32 v[2:3], s[38:39]
	v_cmp_lt_u64_e32 vcc, s[2:3], v[2:3]
	s_cbranch_vccnz .LBB0_5
; %bb.4:
	v_cvt_f32_u32_e32 v1, s38
	s_sub_i32 s0, 0, s38
	s_mov_b32 s25, s3
	v_rcp_iflag_f32_e32 v1, v1
	s_nop 0
	v_mul_f32_e32 v1, 0x4f7ffffe, v1
	v_cvt_u32_f32_e32 v1, v1
	s_nop 0
	v_readfirstlane_b32 s1, v1
	s_mul_i32 s0, s0, s1
	s_mul_hi_u32 s0, s1, s0
	s_add_i32 s1, s1, s0
	s_mul_hi_u32 s0, s2, s1
	s_mul_i32 s4, s0, s38
	s_sub_i32 s4, s2, s4
	s_add_i32 s1, s0, 1
	s_sub_i32 s5, s4, s38
	s_cmp_ge_u32 s4, s38
	s_cselect_b32 s0, s1, s0
	s_cselect_b32 s4, s5, s4
	s_add_i32 s1, s0, 1
	s_cmp_ge_u32 s4, s38
	s_cselect_b32 s24, s1, s0
.LBB0_5:
	s_mul_i32 s0, s24, s39
	s_mul_hi_u32 s1, s24, s38
	s_add_i32 s1, s1, s0
	s_mul_i32 s0, s24, s38
	s_load_dwordx4 s[20:23], s[10:11], 0x0
	s_load_dwordx4 s[16:19], s[30:31], 0x0
	s_sub_u32 s0, s2, s0
	s_subb_u32 s1, 0, s1
	s_mul_i32 s1, s1, 9
	s_mul_hi_u32 s4, s0, 9
	s_add_i32 s29, s4, s1
	s_mul_i32 s28, s0, 9
	s_waitcnt lgkmcnt(0)
	s_mul_i32 s0, s22, s29
	s_mul_hi_u32 s1, s22, s28
	s_add_i32 s0, s1, s0
	s_mul_i32 s1, s23, s28
	s_add_i32 s37, s0, s1
	s_mul_i32 s0, s18, s29
	s_mul_hi_u32 s1, s18, s28
	s_add_i32 s0, s1, s0
	s_mul_i32 s1, s19, s28
	s_add_i32 s5, s0, s1
	v_cmp_lt_u64_e64 s[0:1], s[6:7], 3
	s_mul_i32 s36, s22, s28
	s_mul_i32 s4, s18, s28
	s_and_b64 vcc, exec, s[0:1]
	s_cbranch_vccnz .LBB0_15
; %bb.6:
	s_add_u32 s40, s30, 16
	s_addc_u32 s41, s31, 0
	s_add_u32 s42, s10, 16
	s_addc_u32 s43, s11, 0
	;; [unrolled: 2-line block ×3, first 2 shown]
	s_mov_b64 s[44:45], 2
	s_mov_b32 s46, 0
	v_mov_b64_e32 v[2:3], s[6:7]
.LBB0_7:                                ; =>This Inner Loop Header: Depth=1
	s_load_dwordx2 s[48:49], s[8:9], 0x0
	s_waitcnt lgkmcnt(0)
	s_or_b64 s[0:1], s[24:25], s[48:49]
	s_mov_b32 s47, s1
	s_cmp_lg_u64 s[46:47], 0
	s_cbranch_scc0 .LBB0_12
; %bb.8:                                ;   in Loop: Header=BB0_7 Depth=1
	v_cvt_f32_u32_e32 v1, s48
	v_cvt_f32_u32_e32 v4, s49
	s_sub_u32 s0, 0, s48
	s_subb_u32 s1, 0, s49
	v_fmac_f32_e32 v1, 0x4f800000, v4
	v_rcp_f32_e32 v1, v1
	s_nop 0
	v_mul_f32_e32 v1, 0x5f7ffffc, v1
	v_mul_f32_e32 v4, 0x2f800000, v1
	v_trunc_f32_e32 v4, v4
	v_fmac_f32_e32 v1, 0xcf800000, v4
	v_cvt_u32_f32_e32 v4, v4
	v_cvt_u32_f32_e32 v1, v1
	v_readfirstlane_b32 s33, v4
	v_readfirstlane_b32 s47, v1
	s_mul_i32 s50, s0, s33
	s_mul_hi_u32 s52, s0, s47
	s_mul_i32 s51, s1, s47
	s_add_i32 s50, s52, s50
	s_mul_i32 s53, s0, s47
	s_add_i32 s50, s50, s51
	s_mul_hi_u32 s51, s47, s50
	s_mul_i32 s52, s47, s50
	s_mul_hi_u32 s47, s47, s53
	s_add_u32 s47, s47, s52
	s_addc_u32 s51, 0, s51
	s_mul_hi_u32 s54, s33, s53
	s_mul_i32 s53, s33, s53
	s_add_u32 s47, s47, s53
	s_mul_hi_u32 s52, s33, s50
	s_addc_u32 s47, s51, s54
	s_addc_u32 s51, s52, 0
	s_mul_i32 s50, s33, s50
	s_add_u32 s47, s47, s50
	s_addc_u32 s50, 0, s51
	v_add_co_u32_e32 v1, vcc, s47, v1
	s_cmp_lg_u64 vcc, 0
	s_addc_u32 s33, s33, s50
	v_readfirstlane_b32 s50, v1
	s_mul_i32 s47, s0, s33
	s_mul_hi_u32 s51, s0, s50
	s_add_i32 s47, s51, s47
	s_mul_i32 s1, s1, s50
	s_add_i32 s47, s47, s1
	s_mul_i32 s0, s0, s50
	s_mul_hi_u32 s51, s33, s0
	s_mul_i32 s52, s33, s0
	s_mul_i32 s54, s50, s47
	s_mul_hi_u32 s0, s50, s0
	s_mul_hi_u32 s53, s50, s47
	s_add_u32 s0, s0, s54
	s_addc_u32 s50, 0, s53
	s_add_u32 s0, s0, s52
	s_mul_hi_u32 s1, s33, s47
	s_addc_u32 s0, s50, s51
	s_addc_u32 s1, s1, 0
	s_mul_i32 s47, s33, s47
	s_add_u32 s0, s0, s47
	s_addc_u32 s1, 0, s1
	v_add_co_u32_e32 v1, vcc, s0, v1
	s_cmp_lg_u64 vcc, 0
	s_addc_u32 s0, s33, s1
	v_readfirstlane_b32 s47, v1
	s_mul_i32 s33, s24, s0
	s_mul_hi_u32 s50, s24, s47
	s_mul_hi_u32 s1, s24, s0
	s_add_u32 s33, s50, s33
	s_addc_u32 s1, 0, s1
	s_mul_hi_u32 s51, s25, s47
	s_mul_i32 s47, s25, s47
	s_add_u32 s33, s33, s47
	s_mul_hi_u32 s50, s25, s0
	s_addc_u32 s1, s1, s51
	s_addc_u32 s33, s50, 0
	s_mul_i32 s0, s25, s0
	s_add_u32 s47, s1, s0
	s_addc_u32 s33, 0, s33
	s_mul_i32 s0, s48, s33
	s_mul_hi_u32 s1, s48, s47
	s_add_i32 s0, s1, s0
	s_mul_i32 s1, s49, s47
	s_add_i32 s50, s0, s1
	s_mul_i32 s1, s48, s47
	v_mov_b32_e32 v1, s1
	s_sub_i32 s0, s25, s50
	v_sub_co_u32_e32 v1, vcc, s24, v1
	s_cmp_lg_u64 vcc, 0
	s_subb_u32 s51, s0, s49
	v_subrev_co_u32_e64 v4, s[0:1], s48, v1
	s_cmp_lg_u64 s[0:1], 0
	s_subb_u32 s0, s51, 0
	s_cmp_ge_u32 s0, s49
	v_readfirstlane_b32 s51, v4
	s_cselect_b32 s1, -1, 0
	s_cmp_ge_u32 s51, s48
	s_cselect_b32 s51, -1, 0
	s_cmp_eq_u32 s0, s49
	s_cselect_b32 s0, s51, s1
	s_add_u32 s1, s47, 1
	s_addc_u32 s51, s33, 0
	s_add_u32 s52, s47, 2
	s_addc_u32 s53, s33, 0
	s_cmp_lg_u32 s0, 0
	s_cselect_b32 s0, s52, s1
	s_cselect_b32 s1, s53, s51
	s_cmp_lg_u64 vcc, 0
	s_subb_u32 s50, s25, s50
	s_cmp_ge_u32 s50, s49
	v_readfirstlane_b32 s52, v1
	s_cselect_b32 s51, -1, 0
	s_cmp_ge_u32 s52, s48
	s_cselect_b32 s52, -1, 0
	s_cmp_eq_u32 s50, s49
	s_cselect_b32 s50, s52, s51
	s_cmp_lg_u32 s50, 0
	s_cselect_b32 s1, s1, s33
	s_cselect_b32 s0, s0, s47
	s_cbranch_execnz .LBB0_10
.LBB0_9:                                ;   in Loop: Header=BB0_7 Depth=1
	v_cvt_f32_u32_e32 v1, s48
	s_sub_i32 s0, 0, s48
	v_rcp_iflag_f32_e32 v1, v1
	s_nop 0
	v_mul_f32_e32 v1, 0x4f7ffffe, v1
	v_cvt_u32_f32_e32 v1, v1
	s_nop 0
	v_readfirstlane_b32 s1, v1
	s_mul_i32 s0, s0, s1
	s_mul_hi_u32 s0, s1, s0
	s_add_i32 s1, s1, s0
	s_mul_hi_u32 s0, s24, s1
	s_mul_i32 s33, s0, s48
	s_sub_i32 s33, s24, s33
	s_add_i32 s1, s0, 1
	s_sub_i32 s47, s33, s48
	s_cmp_ge_u32 s33, s48
	s_cselect_b32 s0, s1, s0
	s_cselect_b32 s33, s47, s33
	s_add_i32 s1, s0, 1
	s_cmp_ge_u32 s33, s48
	s_cselect_b32 s0, s1, s0
	s_mov_b32 s1, s46
.LBB0_10:                               ;   in Loop: Header=BB0_7 Depth=1
	s_mul_i32 s33, s48, s39
	s_mul_hi_u32 s39, s48, s38
	s_add_i32 s33, s39, s33
	s_mul_i32 s39, s49, s38
	s_add_i32 s39, s33, s39
	s_mul_i32 s33, s0, s49
	s_mul_hi_u32 s47, s0, s48
	s_load_dwordx2 s[50:51], s[42:43], 0x0
	s_add_i32 s33, s47, s33
	s_mul_i32 s47, s1, s48
	s_add_i32 s33, s33, s47
	s_mul_i32 s47, s0, s48
	s_sub_u32 s47, s24, s47
	s_subb_u32 s33, s25, s33
	s_waitcnt lgkmcnt(0)
	s_mul_i32 s24, s50, s33
	s_mul_hi_u32 s25, s50, s47
	s_mul_i32 s38, s48, s38
	s_add_i32 s48, s25, s24
	s_load_dwordx2 s[24:25], s[40:41], 0x0
	s_mul_i32 s49, s51, s47
	s_add_i32 s48, s48, s49
	s_mul_i32 s49, s50, s47
	s_add_u32 s36, s49, s36
	s_addc_u32 s37, s48, s37
	s_waitcnt lgkmcnt(0)
	s_mul_i32 s33, s24, s33
	s_mul_hi_u32 s48, s24, s47
	s_add_i32 s33, s48, s33
	s_mul_i32 s25, s25, s47
	s_add_i32 s33, s33, s25
	s_mul_i32 s24, s24, s47
	s_add_u32 s4, s24, s4
	s_addc_u32 s5, s33, s5
	s_add_u32 s44, s44, 1
	s_addc_u32 s45, s45, 0
	;; [unrolled: 2-line block ×4, first 2 shown]
	s_add_u32 s8, s8, 8
	v_cmp_ge_u64_e32 vcc, s[44:45], v[2:3]
	s_addc_u32 s9, s9, 0
	s_cbranch_vccnz .LBB0_13
; %bb.11:                               ;   in Loop: Header=BB0_7 Depth=1
	s_mov_b64 s[24:25], s[0:1]
	s_branch .LBB0_7
.LBB0_12:                               ;   in Loop: Header=BB0_7 Depth=1
                                        ; implicit-def: $sgpr0_sgpr1
	s_branch .LBB0_9
.LBB0_13:
	v_mov_b64_e32 v[2:3], s[38:39]
	v_cmp_lt_u64_e32 vcc, s[2:3], v[2:3]
	s_mov_b64 s[24:25], 0
	s_cbranch_vccnz .LBB0_15
; %bb.14:
	v_cvt_f32_u32_e32 v1, s38
	s_sub_i32 s0, 0, s38
	v_rcp_iflag_f32_e32 v1, v1
	s_nop 0
	v_mul_f32_e32 v1, 0x4f7ffffe, v1
	v_cvt_u32_f32_e32 v1, v1
	s_nop 0
	v_readfirstlane_b32 s1, v1
	s_mul_i32 s0, s0, s1
	s_mul_hi_u32 s0, s1, s0
	s_add_i32 s1, s1, s0
	s_mul_hi_u32 s0, s2, s1
	s_mul_i32 s3, s0, s38
	s_sub_i32 s2, s2, s3
	s_add_i32 s1, s0, 1
	s_sub_i32 s3, s2, s38
	s_cmp_ge_u32 s2, s38
	s_cselect_b32 s0, s1, s0
	s_cselect_b32 s2, s3, s2
	s_add_i32 s1, s0, 1
	s_cmp_ge_u32 s2, s38
	s_cselect_b32 s24, s1, s0
.LBB0_15:
	s_lshl_b64 s[8:9], s[6:7], 3
	s_add_u32 s2, s30, s8
	s_addc_u32 s3, s31, s9
	s_add_u32 s0, s28, 9
	s_addc_u32 s1, s29, 0
	v_mov_b64_e32 v[2:3], s[34:35]
	v_cmp_le_u64_e32 vcc, s[0:1], v[2:3]
	s_mov_b32 s0, 0x1c71c71d
	v_mul_hi_u32 v144, v0, s0
	v_mul_u32_u24_e32 v1, 9, v144
	v_sub_u32_e32 v28, v0, v1
	v_mov_b32_e32 v29, 0
	v_lshl_add_u64 v[2:3], s[28:29], 0, v[28:29]
	v_cmp_gt_u64_e64 s[0:1], s[34:35], v[2:3]
	s_or_b64 s[0:1], vcc, s[0:1]
	v_lshlrev_b32_e32 v149, 3, v144
	v_add_u32_e32 v148, 16, v144
	v_or_b32_e32 v147, 32, v144
	v_add_u32_e32 v146, 48, v144
	v_or_b32_e32 v145, 64, v144
	s_and_saveexec_b64 s[6:7], s[0:1]
	s_cbranch_execz .LBB0_17
; %bb.16:
	s_add_u32 s8, s10, s8
	s_addc_u32 s9, s11, s9
	s_load_dwordx2 s[8:9], s[8:9], 0x0
	v_mad_u64_u32 v[2:3], s[10:11], s22, v28, 0
	v_mov_b32_e32 v4, v3
	v_add_u32_e32 v1, 0x50, v144
	s_waitcnt lgkmcnt(0)
	s_mul_i32 s9, s9, s24
	s_mul_hi_u32 s10, s8, s24
	s_add_i32 s9, s10, s9
	v_mad_u64_u32 v[4:5], s[10:11], s23, v28, v[4:5]
	v_mov_b32_e32 v3, v4
	v_mad_u64_u32 v[4:5], s[10:11], s20, v144, 0
	s_mul_i32 s8, s8, s24
	v_mov_b32_e32 v6, v5
	v_mad_u64_u32 v[6:7], s[10:11], s21, v144, v[6:7]
	s_lshl_b64 s[8:9], s[8:9], 3
	s_add_u32 s10, s12, s8
	s_addc_u32 s11, s13, s9
	s_lshl_b64 s[8:9], s[36:37], 3
	s_add_u32 s8, s10, s8
	s_addc_u32 s9, s11, s9
	v_mov_b32_e32 v5, v6
	v_lshl_add_u64 v[2:3], v[2:3], 3, s[8:9]
	v_mad_u64_u32 v[6:7], s[8:9], s20, v148, 0
	v_mov_b32_e32 v8, v7
	v_mad_u64_u32 v[8:9], s[8:9], s21, v148, v[8:9]
	v_mov_b32_e32 v7, v8
	;; [unrolled: 2-line block ×5, first 2 shown]
	v_mad_u64_u32 v[12:13], s[8:9], s21, v146, v[12:13]
	v_lshl_add_u64 v[4:5], v[4:5], 3, v[2:3]
	v_mov_b32_e32 v11, v12
	v_lshl_add_u64 v[6:7], v[6:7], 3, v[2:3]
	v_lshl_add_u64 v[8:9], v[8:9], 3, v[2:3]
	;; [unrolled: 1-line block ×3, first 2 shown]
	global_load_dwordx2 v[12:13], v[4:5], off
	global_load_dwordx2 v[14:15], v[6:7], off
	;; [unrolled: 1-line block ×4, first 2 shown]
	v_mad_u64_u32 v[4:5], s[8:9], s20, v145, 0
	v_mov_b32_e32 v6, v5
	v_mad_u64_u32 v[6:7], s[8:9], s21, v145, v[6:7]
	v_mov_b32_e32 v5, v6
	v_mad_u64_u32 v[6:7], s[8:9], s20, v1, 0
	v_mov_b32_e32 v8, v7
	v_mad_u64_u32 v[8:9], s[8:9], s21, v1, v[8:9]
	v_or_b32_e32 v1, 0x60, v144
	v_mov_b32_e32 v7, v8
	v_mad_u64_u32 v[8:9], s[8:9], s20, v1, 0
	v_mov_b32_e32 v10, v9
	v_mad_u64_u32 v[10:11], s[8:9], s21, v1, v[10:11]
	v_add_u32_e32 v1, 0x70, v144
	v_mov_b32_e32 v9, v10
	v_mad_u64_u32 v[10:11], s[8:9], s20, v1, 0
	v_mov_b32_e32 v20, v11
	v_mad_u64_u32 v[20:21], s[8:9], s21, v1, v[20:21]
	v_lshl_add_u64 v[4:5], v[4:5], 3, v[2:3]
	v_mov_b32_e32 v11, v20
	v_or_b32_e32 v1, 0x80, v144
	v_lshl_add_u64 v[6:7], v[6:7], 3, v[2:3]
	v_lshl_add_u64 v[8:9], v[8:9], 3, v[2:3]
	;; [unrolled: 1-line block ×3, first 2 shown]
	global_load_dwordx2 v[20:21], v[4:5], off
	global_load_dwordx2 v[22:23], v[6:7], off
	;; [unrolled: 1-line block ×4, first 2 shown]
	v_mad_u64_u32 v[4:5], s[8:9], s20, v1, 0
	v_mov_b32_e32 v6, v5
	v_mad_u64_u32 v[6:7], s[8:9], s21, v1, v[6:7]
	v_add_u32_e32 v1, 0x90, v144
	v_mov_b32_e32 v5, v6
	v_mad_u64_u32 v[6:7], s[8:9], s20, v1, 0
	v_mov_b32_e32 v8, v7
	v_mad_u64_u32 v[8:9], s[8:9], s21, v1, v[8:9]
	v_or_b32_e32 v1, 0xa0, v144
	v_mov_b32_e32 v7, v8
	v_mad_u64_u32 v[8:9], s[8:9], s20, v1, 0
	v_mov_b32_e32 v10, v9
	v_mad_u64_u32 v[10:11], s[8:9], s21, v1, v[10:11]
	v_add_u32_e32 v1, 0xb0, v144
	v_mov_b32_e32 v9, v10
	v_mad_u64_u32 v[10:11], s[8:9], s20, v1, 0
	v_mov_b32_e32 v30, v11
	v_mad_u64_u32 v[30:31], s[8:9], s21, v1, v[30:31]
	v_lshl_add_u64 v[4:5], v[4:5], 3, v[2:3]
	v_mov_b32_e32 v11, v30
	v_lshl_add_u64 v[6:7], v[6:7], 3, v[2:3]
	v_lshl_add_u64 v[8:9], v[8:9], 3, v[2:3]
	;; [unrolled: 1-line block ×3, first 2 shown]
	global_load_dwordx2 v[30:31], v[4:5], off
	global_load_dwordx2 v[32:33], v[6:7], off
	;; [unrolled: 1-line block ×4, first 2 shown]
	v_or_b32_e32 v1, 0xc0, v144
	v_mad_u64_u32 v[4:5], s[8:9], s20, v1, 0
	v_mov_b32_e32 v6, v5
	v_mad_u64_u32 v[6:7], s[8:9], s21, v1, v[6:7]
	v_mov_b32_e32 v5, v6
	v_lshl_add_u64 v[2:3], v[4:5], 3, v[2:3]
	global_load_dwordx2 v[2:3], v[2:3], off
	s_movk_i32 s8, 0x680
	v_mul_lo_u32 v1, v28, s8
	v_add3_u32 v1, 0, v1, v149
	s_waitcnt vmcnt(11)
	ds_write2_b64 v1, v[12:13], v[14:15] offset1:16
	s_waitcnt vmcnt(9)
	ds_write2_b64 v1, v[16:17], v[18:19] offset0:32 offset1:48
	s_waitcnt vmcnt(7)
	ds_write2_b64 v1, v[20:21], v[22:23] offset0:64 offset1:80
	;; [unrolled: 2-line block ×5, first 2 shown]
	s_waitcnt vmcnt(0)
	ds_write_b64 v1, v[2:3] offset:1536
.LBB0_17:
	s_or_b64 exec, exec, s[6:7]
	s_add_u32 s6, 0, 0x71c4fc00
	s_addc_u32 s7, 0, 0x7c
	s_add_i32 s7, s7, 0x1c71c6a0
	s_mul_hi_u32 s11, s6, -9
	s_sub_i32 s11, s11, s6
	s_mul_i32 s12, s7, -9
	s_mul_i32 s8, s6, -9
	s_add_i32 s11, s11, s12
	s_mul_hi_u32 s9, s7, s8
	s_mul_i32 s10, s7, s8
	s_mul_i32 s13, s6, s11
	s_mul_hi_u32 s8, s6, s8
	s_mul_hi_u32 s12, s6, s11
	s_add_u32 s8, s8, s13
	s_addc_u32 s12, 0, s12
	s_add_u32 s8, s8, s10
	s_mul_hi_u32 s13, s7, s11
	s_addc_u32 s8, s12, s9
	s_addc_u32 s9, s13, 0
	s_mul_i32 s10, s7, s11
	s_add_u32 s8, s8, s10
	v_mov_b32_e32 v1, s8
	s_addc_u32 s9, 0, s9
	v_add_co_u32_e32 v1, vcc, s6, v1
	v_lshrrev_b32_e32 v2, 4, v0
	v_mov_b32_e32 v3, v29
	s_cmp_lg_u64 vcc, 0
	v_lshl_add_u64 v[34:35], s[28:29], 0, v[2:3]
	s_addc_u32 s8, s7, s9
	v_mad_u64_u32 v[2:3], s[6:7], v34, s8, 0
	v_mul_hi_u32 v4, v34, v1
	v_mov_b32_e32 v5, v29
	v_lshl_add_u64 v[2:3], v[4:5], 0, v[2:3]
	v_mad_u64_u32 v[6:7], s[6:7], v35, v1, 0
	v_add_co_u32_e32 v1, vcc, v2, v6
	v_mad_u64_u32 v[4:5], s[6:7], v35, s8, 0
	s_nop 0
	v_addc_co_u32_e32 v2, vcc, v3, v7, vcc
	v_mov_b32_e32 v3, v29
	s_nop 0
	v_addc_co_u32_e32 v5, vcc, 0, v5, vcc
	v_lshl_add_u64 v[2:3], v[2:3], 0, v[4:5]
	v_mad_u64_u32 v[4:5], s[6:7], v2, 9, 0
	v_mov_b32_e32 v2, v5
	v_mad_u64_u32 v[2:3], s[6:7], v3, 9, v[2:3]
	v_sub_co_u32_e32 v1, vcc, v34, v4
	s_load_dwordx2 s[2:3], s[2:3], 0x0
	s_nop 0
	v_subb_co_u32_e32 v2, vcc, v35, v2, vcc
	v_subrev_co_u32_e32 v3, vcc, 9, v1
	v_and_b32_e32 v35, 15, v0
	s_nop 0
	v_subbrev_co_u32_e32 v4, vcc, 0, v2, vcc
	v_cmp_lt_u32_e32 vcc, 8, v3
	s_waitcnt lgkmcnt(0)
	s_barrier
	v_cndmask_b32_e64 v5, 0, -1, vcc
	v_cmp_eq_u32_e32 vcc, 0, v4
	s_mov_b32 s8, 0xbf6f5d39
	s_nop 0
	v_cndmask_b32_e32 v4, -1, v5, vcc
	v_add_u32_e32 v5, -9, v3
	v_cmp_ne_u32_e32 vcc, 0, v4
	s_mov_b32 s6, 0xbeb58ec6
	s_mov_b32 s46, 0x3f29c268
	v_cndmask_b32_e32 v3, v3, v5, vcc
	v_cmp_lt_u32_e32 vcc, 8, v1
	s_mov_b32 s12, 0xbf3f9e67
	s_mov_b32 s44, 0xbf7e222b
	v_cndmask_b32_e64 v4, 0, -1, vcc
	v_cmp_eq_u32_e32 vcc, 0, v2
	s_mov_b32 s22, 0xbf29c268
	s_mov_b32 s10, 0x3df6dbef
	v_cndmask_b32_e32 v2, -1, v4, vcc
	v_cmp_ne_u32_e32 vcc, 0, v2
	s_mov_b32 s20, 0x3f7e222b
	s_mov_b32 s23, s12
	v_cndmask_b32_e32 v1, v1, v3, vcc
	v_mul_u32_u24_e32 v1, 0xd0, v1
	v_lshlrev_b32_e32 v0, 3, v1
	v_lshlrev_b32_e32 v1, 3, v35
	v_add3_u32 v29, 0, v1, v0
	ds_read2_b64 v[8:11], v29 offset0:16 offset1:32
	ds_read2_b64 v[4:7], v29 offset0:176 offset1:192
	v_add3_u32 v150, 0, v0, v1
	ds_read_b64 v[2:3], v150
	ds_read2_b64 v[16:19], v29 offset0:48 offset1:64
	ds_read2_b64 v[12:15], v29 offset0:144 offset1:160
	s_mov_b32 s21, s10
	s_mov_b32 s30, 0x3eedf032
	s_waitcnt lgkmcnt(3)
	v_pk_add_f32 v[50:51], v[8:9], v[6:7] neg_lo:[0,1] neg_hi:[0,1]
	v_pk_add_f32 v[48:49], v[6:7], v[8:9]
	v_pk_mul_f32 v[0:1], v[50:51], s[8:9] op_sel_hi:[1,0]
	v_pk_add_f32 v[54:55], v[10:11], v[4:5] neg_lo:[0,1] neg_hi:[0,1]
	v_pk_fma_f32 v[40:41], v[48:49], s[6:7], v[0:1] op_sel:[0,0,1] op_sel_hi:[1,0,0] neg_lo:[0,0,1] neg_hi:[0,0,1]
	v_pk_fma_f32 v[46:47], v[48:49], s[6:7], v[0:1] op_sel:[0,0,1] op_sel_hi:[1,0,0]
	v_pk_add_f32 v[52:53], v[4:5], v[10:11]
	v_pk_mul_f32 v[20:21], v[54:55], s[46:47] op_sel_hi:[1,0]
	s_waitcnt lgkmcnt(0)
	v_pk_add_f32 v[58:59], v[18:19], v[12:13] neg_lo:[0,1] neg_hi:[0,1]
	v_mov_b32_e32 v0, v46
	v_mov_b32_e32 v1, v41
	v_pk_fma_f32 v[44:45], v[52:53], s[12:13], v[20:21] op_sel:[0,0,1] op_sel_hi:[1,0,0] neg_lo:[0,0,1] neg_hi:[0,0,1]
	v_pk_fma_f32 v[60:61], v[52:53], s[12:13], v[20:21] op_sel:[0,0,1] op_sel_hi:[1,0,0]
	v_pk_add_f32 v[56:57], v[12:13], v[18:19]
	v_pk_mul_f32 v[22:23], v[58:59], s[44:45] op_sel_hi:[1,0]
	v_mov_b32_e32 v30, v48
	v_mov_b32_e32 v31, v50
	s_mov_b32 s13, s22
	v_mov_b32_e32 v20, v60
	v_mov_b32_e32 v21, v45
	v_pk_fma_f32 v[64:65], v[56:57], s[10:11], v[22:23] op_sel:[0,0,1] op_sel_hi:[1,0,0] neg_lo:[0,0,1] neg_hi:[0,0,1]
	v_pk_fma_f32 v[68:69], v[56:57], s[10:11], v[22:23] op_sel:[0,0,1] op_sel_hi:[1,0,0]
	v_pk_add_f32 v[0:1], v[2:3], v[0:1]
	v_mov_b32_e32 v74, v51
	v_mov_b32_e32 v75, v49
	v_pk_mul_f32 v[76:77], v[30:31], s[12:13]
	v_mov_b32_e32 v32, v52
	v_mov_b32_e32 v33, v54
	s_mov_b32 s11, s20
	v_pk_add_f32 v[0:1], v[20:21], v[0:1]
	v_pk_fma_f32 v[78:79], v[74:75], s[22:23], v[76:77]
	v_pk_fma_f32 v[20:21], v[74:75], s[22:23], v[76:77] neg_lo:[1,0,0] neg_hi:[1,0,0]
	v_mov_b32_e32 v80, v55
	v_mov_b32_e32 v81, v53
	v_pk_mul_f32 v[88:89], v[32:33], s[10:11]
	v_mov_b32_e32 v21, v79
	v_pk_fma_f32 v[84:85], v[80:81], s[20:21], v[88:89]
	v_pk_fma_f32 v[22:23], v[80:81], s[20:21], v[88:89] neg_lo:[1,0,0] neg_hi:[1,0,0]
	v_pk_add_f32 v[20:21], v[2:3], v[20:21]
	v_mov_b32_e32 v23, v85
	v_pk_add_f32 v[72:73], v[16:17], v[14:15] neg_lo:[0,1] neg_hi:[0,1]
	v_pk_add_f32 v[36:37], v[22:23], v[20:21]
	s_mov_b32 s28, 0x3f62ad3f
	v_pk_add_f32 v[70:71], v[14:15], v[16:17]
	v_pk_mul_f32 v[20:21], v[72:73], s[30:31] op_sel_hi:[1,0]
	s_mov_b32 s36, 0x3f52af12
	v_pk_fma_f32 v[90:91], v[70:71], s[28:29], v[20:21] op_sel:[0,0,1] op_sel_hi:[1,0,0] neg_lo:[0,0,1] neg_hi:[0,0,1]
	v_pk_fma_f32 v[96:97], v[70:71], s[28:29], v[20:21] op_sel:[0,0,1] op_sel_hi:[1,0,0]
	ds_read2_b64 v[24:27], v29 offset0:80 offset1:96
	ds_read2_b64 v[20:23], v29 offset0:112 offset1:128
	v_mov_b32_e32 v38, v96
	v_mov_b32_e32 v39, v91
	v_pk_add_f32 v[0:1], v[38:39], v[0:1]
	s_mov_b32 s34, 0x3f116cb1
	s_waitcnt lgkmcnt(0)
	v_pk_add_f32 v[66:67], v[26:27], v[20:21] neg_lo:[0,1] neg_hi:[0,1]
	v_pk_add_f32 v[62:63], v[20:21], v[26:27]
	v_pk_mul_f32 v[38:39], v[66:67], s[36:37] op_sel_hi:[1,0]
	s_mov_b32 s40, 0xbf52af12
	v_pk_fma_f32 v[100:101], v[62:63], s[34:35], v[38:39] op_sel:[0,0,1] op_sel_hi:[1,0,0] neg_lo:[0,0,1] neg_hi:[0,0,1]
	v_pk_fma_f32 v[102:103], v[62:63], s[34:35], v[38:39] op_sel:[0,0,1] op_sel_hi:[1,0,0]
	v_mov_b32_e32 v38, v70
	v_mov_b32_e32 v39, v72
	s_mov_b32 s35, s40
	v_mov_b32_e32 v92, v73
	v_mov_b32_e32 v93, v71
	s_mov_b32 s41, s34
	v_pk_mul_f32 v[98:99], v[38:39], s[34:35]
	s_mov_b32 s42, 0x3e750f2a
	v_pk_fma_f32 v[94:95], v[92:93], s[40:41], v[98:99]
	v_pk_fma_f32 v[42:43], v[92:93], s[40:41], v[98:99] neg_lo:[1,0,0] neg_hi:[1,0,0]
	v_pk_add_f32 v[86:87], v[24:25], v[22:23] neg_lo:[0,1] neg_hi:[0,1]
	v_mov_b32_e32 v43, v95
	v_pk_add_f32 v[36:37], v[42:43], v[36:37]
	v_mov_b32_e32 v42, v68
	v_mov_b32_e32 v43, v65
	v_pk_add_f32 v[0:1], v[42:43], v[0:1]
	s_mov_b32 s38, 0xbf788fa5
	v_pk_add_f32 v[82:83], v[22:23], v[24:25]
	v_pk_mul_f32 v[42:43], v[86:87], s[42:43] op_sel_hi:[1,0]
	v_mov_b32_e32 v104, v59
	v_pk_fma_f32 v[116:117], v[82:83], s[38:39], v[42:43] op_sel:[0,0,1] op_sel_hi:[1,0,0] neg_lo:[0,0,1] neg_hi:[0,0,1]
	v_pk_fma_f32 v[122:123], v[82:83], s[38:39], v[42:43] op_sel:[0,0,1] op_sel_hi:[1,0,0]
	v_mov_b32_e32 v42, v56
	v_mov_b32_e32 v43, v58
	s_mov_b32 s39, s42
	v_mov_b32_e32 v105, v57
	s_mov_b32 s43, s38
	v_pk_mul_f32 v[108:109], v[42:43], s[38:39]
	s_mov_b32 s29, s30
	v_pk_fma_f32 v[106:107], v[104:105], s[42:43], v[108:109]
	v_pk_fma_f32 v[110:111], v[104:105], s[42:43], v[108:109] neg_lo:[1,0,0] neg_hi:[1,0,0]
	v_mov_b32_e32 v112, v87
	v_mov_b32_e32 v111, v107
	v_pk_add_f32 v[110:111], v[110:111], v[36:37]
	v_mov_b32_e32 v36, v122
	v_mov_b32_e32 v37, v117
	v_pk_add_f32 v[36:37], v[36:37], v[0:1]
	v_mov_b32_e32 v0, v82
	v_mov_b32_e32 v1, v86
	;; [unrolled: 1-line block ×3, first 2 shown]
	s_mov_b32 s31, s28
	v_pk_mul_f32 v[120:121], v[0:1], s[28:29]
	s_mov_b32 s48, 0xbeedf032
	v_pk_fma_f32 v[118:119], v[112:113], s[30:31], v[120:121]
	v_pk_fma_f32 v[114:115], v[112:113], s[30:31], v[120:121] neg_lo:[1,0,0] neg_hi:[1,0,0]
	s_mov_b32 s29, s48
	v_mov_b32_e32 v115, v119
	s_mov_b32 s49, s28
	v_pk_mul_f32 v[30:31], v[30:31], s[28:29]
	v_pk_add_f32 v[110:111], v[114:115], v[110:111]
	v_pk_fma_f32 v[126:127], v[74:75], s[48:49], v[30:31]
	v_pk_fma_f32 v[114:115], v[74:75], s[48:49], v[30:31] neg_lo:[1,0,0] neg_hi:[1,0,0]
	v_pk_mul_f32 v[32:33], v[32:33], s[34:35]
	v_mov_b32_e32 v115, v127
	v_pk_fma_f32 v[128:129], v[80:81], s[40:41], v[32:33]
	v_pk_fma_f32 v[124:125], v[80:81], s[40:41], v[32:33] neg_lo:[1,0,0] neg_hi:[1,0,0]
	s_mov_b32 s11, s44
	v_mov_b32_e32 v125, v129
	v_pk_add_f32 v[114:115], v[2:3], v[114:115]
	s_mov_b32 s45, s10
	v_pk_mul_f32 v[38:39], v[38:39], s[10:11]
	v_pk_add_f32 v[114:115], v[124:125], v[114:115]
	v_pk_fma_f32 v[130:131], v[92:93], s[44:45], v[38:39]
	v_pk_fma_f32 v[124:125], v[92:93], s[44:45], v[38:39] neg_lo:[1,0,0] neg_hi:[1,0,0]
	s_mov_b32 s7, s8
	v_mov_b32_e32 v125, v131
	s_mov_b32 s9, s6
	v_pk_mul_f32 v[42:43], v[42:43], s[6:7]
	v_pk_add_f32 v[114:115], v[124:125], v[114:115]
	v_pk_fma_f32 v[132:133], v[104:105], s[8:9], v[42:43]
	v_pk_fma_f32 v[124:125], v[104:105], s[8:9], v[42:43] neg_lo:[1,0,0] neg_hi:[1,0,0]
	v_pk_fma_f32 v[30:31], v[74:75], s[48:49], v[30:31] neg_lo:[0,0,1] neg_hi:[0,0,1]
	v_mov_b32_e32 v125, v133
	v_pk_mul_f32 v[0:1], v[0:1], s[12:13]
	v_mov_b32_e32 v127, v31
	v_pk_fma_f32 v[30:31], v[80:81], s[40:41], v[32:33] neg_lo:[0,0,1] neg_hi:[0,0,1]
	s_mov_b32 s48, 0xbe750f2a
	v_pk_add_f32 v[114:115], v[124:125], v[114:115]
	v_pk_fma_f32 v[134:135], v[112:113], s[22:23], v[0:1]
	v_pk_fma_f32 v[124:125], v[112:113], s[22:23], v[0:1] neg_lo:[1,0,0] neg_hi:[1,0,0]
	v_mov_b32_e32 v129, v31
	v_pk_fma_f32 v[30:31], v[92:93], s[44:45], v[38:39] neg_lo:[0,0,1] neg_hi:[0,0,1]
	v_pk_fma_f32 v[0:1], v[112:113], s[22:23], v[0:1] neg_lo:[0,0,1] neg_hi:[0,0,1]
	v_mov_b32_e32 v138, v62
	v_mov_b32_e32 v139, v66
	s_mov_b32 s39, s48
	v_mov_b32_e32 v125, v135
	v_mov_b32_e32 v131, v31
	v_pk_fma_f32 v[30:31], v[104:105], s[8:9], v[42:43] neg_lo:[0,0,1] neg_hi:[0,0,1]
	v_mov_b32_e32 v135, v1
	v_mov_b32_e32 v136, v67
	;; [unrolled: 1-line block ×3, first 2 shown]
	s_mov_b32 s49, s38
	v_pk_mul_f32 v[0:1], v[138:139], s[38:39]
	v_pk_add_f32 v[114:115], v[124:125], v[114:115]
	v_mov_b32_e32 v133, v31
	v_pk_fma_f32 v[30:31], v[136:137], s[48:49], v[0:1]
	v_pk_fma_f32 v[124:125], v[136:137], s[48:49], v[0:1] neg_lo:[1,0,0] neg_hi:[1,0,0]
	v_pk_fma_f32 v[0:1], v[136:137], s[48:49], v[0:1] neg_lo:[0,0,1] neg_hi:[0,0,1]
	v_mov_b32_e32 v125, v31
	v_mov_b32_e32 v31, v1
	v_pk_add_f32 v[0:1], v[2:3], v[126:127]
	v_pk_mul_f32 v[42:43], v[54:55], s[8:9] op_sel_hi:[1,0]
	v_pk_add_f32 v[0:1], v[128:129], v[0:1]
	v_pk_fma_f32 v[126:127], v[52:53], s[6:7], v[42:43] op_sel:[0,0,1] op_sel_hi:[1,0,0] neg_lo:[0,0,1] neg_hi:[0,0,1]
	v_pk_add_f32 v[0:1], v[130:131], v[0:1]
	v_pk_fma_f32 v[42:43], v[52:53], s[6:7], v[42:43] op_sel:[0,0,1] op_sel_hi:[1,0,0]
	v_pk_add_f32 v[0:1], v[132:133], v[0:1]
	v_mov_b32_e32 v128, v42
	v_pk_add_f32 v[0:1], v[134:135], v[0:1]
	v_mov_b32_e32 v129, v127
	v_pk_add_f32 v[30:31], v[30:31], v[0:1]
	v_pk_mul_f32 v[0:1], v[50:51], s[40:41] op_sel_hi:[1,0]
	v_mov_b32_e32 v127, v43
	v_pk_fma_f32 v[38:39], v[48:49], s[34:35], v[0:1] op_sel:[0,0,1] op_sel_hi:[1,0,0] neg_lo:[0,0,1] neg_hi:[0,0,1]
	v_pk_fma_f32 v[0:1], v[48:49], s[34:35], v[0:1] op_sel:[0,0,1] op_sel_hi:[1,0,0]
	v_mov_b32_e32 v33, v39
	v_mov_b32_e32 v32, v0
	v_pk_add_f32 v[32:33], v[2:3], v[32:33]
	v_mov_b32_e32 v39, v1
	v_pk_add_f32 v[32:33], v[128:129], v[32:33]
	v_pk_mul_f32 v[128:129], v[72:73], s[48:49] op_sel_hi:[1,0]
	v_pk_add_f32 v[0:1], v[2:3], v[38:39]
	v_pk_fma_f32 v[130:131], v[70:71], s[38:39], v[128:129] op_sel:[0,0,1] op_sel_hi:[1,0,0] neg_lo:[0,0,1] neg_hi:[0,0,1]
	v_pk_fma_f32 v[128:129], v[70:71], s[38:39], v[128:129] op_sel:[0,0,1] op_sel_hi:[1,0,0]
	v_mov_b32_e32 v133, v131
	v_mov_b32_e32 v132, v128
	v_pk_add_f32 v[32:33], v[132:133], v[32:33]
	v_pk_mul_f32 v[132:133], v[58:59], s[46:47] op_sel_hi:[1,0]
	v_mov_b32_e32 v131, v129
	v_pk_fma_f32 v[134:135], v[56:57], s[12:13], v[132:133] op_sel:[0,0,1] op_sel_hi:[1,0,0] neg_lo:[0,0,1] neg_hi:[0,0,1]
	v_pk_fma_f32 v[132:133], v[56:57], s[12:13], v[132:133] op_sel:[0,0,1] op_sel_hi:[1,0,0]
	v_mov_b32_e32 v141, v135
	v_mov_b32_e32 v140, v132
	v_pk_add_f32 v[32:33], v[140:141], v[32:33]
	v_pk_mul_f32 v[140:141], v[86:87], s[20:21] op_sel_hi:[1,0]
	v_pk_add_f32 v[0:1], v[126:127], v[0:1]
	v_pk_fma_f32 v[142:143], v[82:83], s[10:11], v[140:141] op_sel:[0,0,1] op_sel_hi:[1,0,0] neg_lo:[0,0,1] neg_hi:[0,0,1]
	v_pk_fma_f32 v[140:141], v[82:83], s[10:11], v[140:141] op_sel:[0,0,1] op_sel_hi:[1,0,0]
	v_mov_b32_e32 v153, v143
	v_mov_b32_e32 v152, v140
	v_pk_add_f32 v[32:33], v[152:153], v[32:33]
	v_pk_mul_f32 v[152:153], v[66:67], s[30:31] op_sel_hi:[1,0]
	v_mov_b32_e32 v135, v133
	v_pk_add_f32 v[0:1], v[130:131], v[0:1]
	v_pk_fma_f32 v[154:155], v[62:63], s[28:29], v[152:153] op_sel:[0,0,1] op_sel_hi:[1,0,0] neg_lo:[0,0,1] neg_hi:[0,0,1]
	v_pk_fma_f32 v[152:153], v[62:63], s[28:29], v[152:153] op_sel:[0,0,1] op_sel_hi:[1,0,0]
	v_mov_b32_e32 v143, v141
	v_pk_add_f32 v[0:1], v[134:135], v[0:1]
	v_mov_b32_e32 v157, v155
	v_mov_b32_e32 v155, v153
	v_pk_add_f32 v[0:1], v[142:143], v[0:1]
	v_pk_mul_f32 v[128:129], v[54:55], s[48:49] op_sel_hi:[1,0]
	v_pk_add_f32 v[42:43], v[154:155], v[0:1]
	v_pk_mul_f32 v[0:1], v[50:51], s[44:45] op_sel_hi:[1,0]
	v_pk_fma_f32 v[130:131], v[52:53], s[38:39], v[128:129] op_sel:[0,0,1] op_sel_hi:[1,0,0]
	v_pk_fma_f32 v[38:39], v[48:49], s[10:11], v[0:1] op_sel:[0,0,1] op_sel_hi:[1,0,0]
	v_pk_fma_f32 v[0:1], v[48:49], s[10:11], v[0:1] op_sel:[0,0,1] op_sel_hi:[1,0,0] neg_lo:[0,0,1] neg_hi:[0,0,1]
	v_mov_b32_e32 v127, v39
	v_mov_b32_e32 v126, v0
	v_pk_fma_f32 v[128:129], v[52:53], s[38:39], v[128:129] op_sel:[0,0,1] op_sel_hi:[1,0,0] neg_lo:[0,0,1] neg_hi:[0,0,1]
	v_mov_b32_e32 v133, v131
	v_mov_b32_e32 v132, v128
	v_pk_add_f32 v[126:127], v[2:3], v[126:127]
	s_mov_b32 s44, 0x3f6f5d39
	v_pk_add_f32 v[126:127], v[132:133], v[126:127]
	v_pk_mul_f32 v[132:133], v[72:73], s[44:45] op_sel_hi:[1,0]
	v_mov_b32_e32 v156, v152
	v_pk_fma_f32 v[134:135], v[70:71], s[6:7], v[132:133] op_sel:[0,0,1] op_sel_hi:[1,0,0]
	v_pk_fma_f32 v[132:133], v[70:71], s[6:7], v[132:133] op_sel:[0,0,1] op_sel_hi:[1,0,0] neg_lo:[0,0,1] neg_hi:[0,0,1]
	v_mov_b32_e32 v141, v135
	v_mov_b32_e32 v140, v132
	v_pk_add_f32 v[126:127], v[140:141], v[126:127]
	v_pk_mul_f32 v[140:141], v[58:59], s[30:31] op_sel_hi:[1,0]
	v_mov_b32_e32 v41, v47
	v_pk_fma_f32 v[142:143], v[56:57], s[28:29], v[140:141] op_sel:[0,0,1] op_sel_hi:[1,0,0]
	v_pk_fma_f32 v[140:141], v[56:57], s[28:29], v[140:141] op_sel:[0,0,1] op_sel_hi:[1,0,0] neg_lo:[0,0,1] neg_hi:[0,0,1]
	v_mov_b32_e32 v153, v143
	v_mov_b32_e32 v152, v140
	v_pk_add_f32 v[126:127], v[152:153], v[126:127]
	v_pk_mul_f32 v[152:153], v[86:87], s[40:41] op_sel_hi:[1,0]
	v_mov_b32_e32 v45, v61
	v_pk_add_f32 v[40:41], v[2:3], v[40:41]
	v_pk_fma_f32 v[154:155], v[82:83], s[34:35], v[152:153] op_sel:[0,0,1] op_sel_hi:[1,0,0]
	v_pk_fma_f32 v[152:153], v[82:83], s[34:35], v[152:153] op_sel:[0,0,1] op_sel_hi:[1,0,0] neg_lo:[0,0,1] neg_hi:[0,0,1]
	v_mov_b32_e32 v39, v1
	v_pk_mul_f32 v[0:1], v[66:67], s[22:23] op_sel_hi:[1,0]
	v_mov_b32_e32 v91, v97
	v_pk_add_f32 v[40:41], v[44:45], v[40:41]
	v_pk_add_f32 v[32:33], v[156:157], v[32:33]
	v_mov_b32_e32 v156, v152
	v_mov_b32_e32 v157, v155
	v_mov_b32_e32 v131, v129
	v_pk_fma_f32 v[128:129], v[62:63], s[12:13], v[0:1] op_sel:[0,0,1] op_sel_hi:[1,0,0]
	v_pk_fma_f32 v[0:1], v[62:63], s[12:13], v[0:1] op_sel:[0,0,1] op_sel_hi:[1,0,0] neg_lo:[0,0,1] neg_hi:[0,0,1]
	v_mov_b32_e32 v65, v69
	v_pk_add_f32 v[40:41], v[90:91], v[40:41]
	v_pk_add_f32 v[126:127], v[156:157], v[126:127]
	v_mov_b32_e32 v135, v133
	v_mov_b32_e32 v132, v0
	v_mov_b32_e32 v133, v129
	v_mov_b32_e32 v117, v123
	v_pk_add_f32 v[40:41], v[64:65], v[40:41]
	v_mov_b32_e32 v129, v1
	v_pk_add_f32 v[0:1], v[2:3], v[38:39]
	v_pk_add_f32 v[38:39], v[132:133], v[126:127]
	v_mov_b32_e32 v127, v101
	v_mov_b32_e32 v101, v103
	v_pk_add_f32 v[40:41], v[116:117], v[40:41]
	v_pk_fma_f32 v[46:47], v[92:93], s[40:41], v[98:99] neg_lo:[0,0,1] neg_hi:[0,0,1]
	v_pk_add_f32 v[44:45], v[100:101], v[40:41]
	v_pk_fma_f32 v[40:41], v[74:75], s[22:23], v[76:77] neg_lo:[0,0,1] neg_hi:[0,0,1]
	v_mov_b32_e32 v95, v47
	v_mov_b32_e32 v79, v41
	v_pk_fma_f32 v[40:41], v[80:81], s[20:21], v[88:89] neg_lo:[0,0,1] neg_hi:[0,0,1]
	v_pk_fma_f32 v[46:47], v[104:105], s[42:43], v[108:109] neg_lo:[0,0,1] neg_hi:[0,0,1]
	v_mov_b32_e32 v85, v41
	v_pk_add_f32 v[40:41], v[2:3], v[78:79]
	v_mov_b32_e32 v107, v47
	v_pk_add_f32 v[40:41], v[84:85], v[40:41]
	v_pk_fma_f32 v[46:47], v[112:113], s[30:31], v[120:121] neg_lo:[0,0,1] neg_hi:[0,0,1]
	v_pk_add_f32 v[40:41], v[94:95], v[40:41]
	v_pk_mul_f32 v[60:61], v[136:137], s[8:9]
	v_pk_add_f32 v[40:41], v[106:107], v[40:41]
	v_mov_b32_e32 v119, v47
	v_pk_fma_f32 v[46:47], v[138:139], s[6:7], v[60:61] neg_lo:[1,0,0] neg_hi:[1,0,0]
	v_pk_fma_f32 v[64:65], v[138:139], s[6:7], v[60:61]
	v_pk_add_f32 v[40:41], v[118:119], v[40:41]
	v_mov_b32_e32 v46, v64
	v_pk_mul_f32 v[50:51], v[50:51], s[48:49] op_sel_hi:[1,0]
	v_pk_add_f32 v[46:47], v[46:47], v[40:41]
	v_pk_fma_f32 v[40:41], v[138:139], s[6:7], v[60:61] neg_lo:[0,0,1] neg_hi:[0,0,1]
	v_pk_fma_f32 v[60:61], v[48:49], s[38:39], v[50:51] op_sel:[0,0,1] op_sel_hi:[1,0,0] neg_lo:[0,0,1] neg_hi:[0,0,1]
	v_pk_fma_f32 v[50:51], v[48:49], s[38:39], v[50:51] op_sel:[0,0,1] op_sel_hi:[1,0,0]
	v_pk_mul_f32 v[48:49], v[54:55], s[30:31] op_sel_hi:[1,0]
	v_pk_add_f32 v[8:9], v[2:3], v[8:9]
	v_pk_fma_f32 v[54:55], v[52:53], s[28:29], v[48:49] op_sel:[0,0,1] op_sel_hi:[1,0,0] neg_lo:[0,0,1] neg_hi:[0,0,1]
	v_pk_fma_f32 v[52:53], v[52:53], s[28:29], v[48:49] op_sel:[0,0,1] op_sel_hi:[1,0,0]
	v_pk_mul_f32 v[48:49], v[72:73], s[22:23] op_sel_hi:[1,0]
	v_pk_add_f32 v[8:9], v[8:9], v[10:11]
	v_mov_b32_e32 v41, v65
	v_pk_fma_f32 v[64:65], v[70:71], s[12:13], v[48:49] op_sel:[0,0,1] op_sel_hi:[1,0,0] neg_lo:[0,0,1] neg_hi:[0,0,1]
	v_pk_fma_f32 v[68:69], v[70:71], s[12:13], v[48:49] op_sel:[0,0,1] op_sel_hi:[1,0,0]
	v_pk_mul_f32 v[48:49], v[58:59], s[36:37] op_sel_hi:[1,0]
	v_pk_add_f32 v[8:9], v[8:9], v[16:17]
	v_pk_fma_f32 v[58:59], v[56:57], s[34:35], v[48:49] op_sel:[0,0,1] op_sel_hi:[1,0,0] neg_lo:[0,0,1] neg_hi:[0,0,1]
	v_pk_fma_f32 v[56:57], v[56:57], s[34:35], v[48:49] op_sel:[0,0,1] op_sel_hi:[1,0,0]
	v_pk_mul_f32 v[48:49], v[86:87], s[8:9] op_sel_hi:[1,0]
	v_pk_add_f32 v[8:9], v[8:9], v[18:19]
	v_pk_fma_f32 v[70:71], v[82:83], s[6:7], v[48:49] op_sel:[0,0,1] op_sel_hi:[1,0,0] neg_lo:[0,0,1] neg_hi:[0,0,1]
	v_pk_fma_f32 v[72:73], v[82:83], s[6:7], v[48:49] op_sel:[0,0,1] op_sel_hi:[1,0,0]
	v_mov_b32_e32 v48, v50
	v_mov_b32_e32 v49, v61
	v_pk_add_f32 v[8:9], v[8:9], v[24:25]
	v_mov_b32_e32 v74, v52
	v_mov_b32_e32 v75, v55
	v_pk_add_f32 v[48:49], v[2:3], v[48:49]
	v_mov_b32_e32 v61, v51
	v_pk_add_f32 v[8:9], v[8:9], v[26:27]
	v_pk_add_f32 v[48:49], v[74:75], v[48:49]
	v_mov_b32_e32 v74, v68
	v_mov_b32_e32 v75, v65
	v_mov_b32_e32 v55, v53
	v_pk_add_f32 v[50:51], v[2:3], v[60:61]
	v_pk_add_f32 v[8:9], v[8:9], v[20:21]
	;; [unrolled: 1-line block ×4, first 2 shown]
	v_mov_b32_e32 v74, v56
	v_mov_b32_e32 v75, v59
	;; [unrolled: 1-line block ×3, first 2 shown]
	v_pk_add_f32 v[50:51], v[54:55], v[50:51]
	v_pk_add_f32 v[8:9], v[8:9], v[22:23]
	v_mov_b32_e32 v143, v141
	v_pk_add_f32 v[0:1], v[134:135], v[0:1]
	v_pk_add_f32 v[48:49], v[74:75], v[48:49]
	v_mov_b32_e32 v74, v72
	v_mov_b32_e32 v75, v71
	v_pk_mul_f32 v[66:67], v[66:67], s[20:21] op_sel_hi:[1,0]
	v_mov_b32_e32 v59, v57
	v_pk_add_f32 v[50:51], v[64:65], v[50:51]
	v_pk_add_f32 v[8:9], v[8:9], v[12:13]
	v_mov_b32_e32 v155, v153
	v_pk_add_f32 v[0:1], v[142:143], v[0:1]
	v_pk_add_f32 v[48:49], v[74:75], v[48:49]
	v_pk_fma_f32 v[74:75], v[62:63], s[10:11], v[66:67] op_sel:[0,0,1] op_sel_hi:[1,0,0] neg_lo:[0,0,1] neg_hi:[0,0,1]
	v_pk_fma_f32 v[62:63], v[62:63], s[10:11], v[66:67] op_sel:[0,0,1] op_sel_hi:[1,0,0]
	v_mov_b32_e32 v71, v73
	v_pk_add_f32 v[50:51], v[58:59], v[50:51]
	v_pk_add_f32 v[8:9], v[8:9], v[14:15]
	;; [unrolled: 1-line block ×3, first 2 shown]
	v_mov_b32_e32 v126, v102
	v_mov_b32_e32 v66, v62
	;; [unrolled: 1-line block ×3, first 2 shown]
	v_pk_add_f32 v[50:51], v[70:71], v[50:51]
	v_mov_b32_e32 v75, v63
	s_movk_i32 s6, 0x60
	v_pk_add_f32 v[4:5], v[8:9], v[4:5]
	v_pk_add_f32 v[0:1], v[128:129], v[0:1]
	;; [unrolled: 1-line block ×7, first 2 shown]
	v_mad_u32_u24 v52, v35, s6, v29
	v_pk_add_f32 v[8:9], v[4:5], v[6:7]
	v_cmp_gt_u32_e32 vcc, 13, v35
	s_barrier
	ds_write2_b64 v52, v[8:9], v[30:31] offset1:1
	ds_write2_b64 v52, v[32:33], v[0:1] offset0:2 offset1:3
	ds_write2_b64 v52, v[36:37], v[46:47] offset0:4 offset1:5
	;; [unrolled: 1-line block ×5, first 2 shown]
	ds_write_b64 v52, v[2:3] offset:96
	s_waitcnt lgkmcnt(0)
	s_barrier
	s_waitcnt lgkmcnt(0)
                                        ; implicit-def: $vgpr6
                                        ; implicit-def: $vgpr104
	s_and_saveexec_b64 s[6:7], vcc
	s_cbranch_execz .LBB0_19
; %bb.18:
	ds_read2_b64 v[10:13], v29 offset0:13 offset1:26
	ds_read2_b64 v[14:17], v29 offset0:39 offset1:52
	;; [unrolled: 1-line block ×7, first 2 shown]
	ds_read_b64 v[8:9], v150
	ds_read_b64 v[104:105], v29 offset:1560
	s_waitcnt lgkmcnt(5)
	v_mov_b64_e32 v[40:41], v[24:25]
	v_mov_b64_e32 v[36:37], v[16:17]
	s_waitcnt lgkmcnt(4)
	v_mov_b64_e32 v[38:39], v[32:33]
	v_mov_b64_e32 v[32:33], v[12:13]
	;; [unrolled: 1-line block ×6, first 2 shown]
	s_waitcnt lgkmcnt(3)
	v_mov_b64_e32 v[42:43], v[0:1]
	v_mov_b64_e32 v[0:1], v[14:15]
	;; [unrolled: 1-line block ×3, first 2 shown]
.LBB0_19:
	s_or_b64 exec, exec, s[6:7]
	v_add_u32_e32 v10, -13, v35
	v_cndmask_b32_e32 v122, v10, v35, vcc
	v_mul_lo_u32 v10, v122, v34
	v_mul_lo_u32 v123, v34, 13
	v_lshrrev_b32_e32 v12, 3, v10
	v_add_u32_e32 v18, v10, v123
	s_add_i32 s6, 0, 0x3a80
	v_and_b32_e32 v12, 0x1f8, v12
	v_add_u32_e32 v26, v18, v123
	v_and_b32_e32 v11, 63, v10
	v_add_u32_e32 v14, s6, v12
	v_lshrrev_b32_e32 v12, 9, v10
	v_and_b32_e32 v10, 63, v18
	v_lshrrev_b32_e32 v19, 3, v18
	v_lshrrev_b32_e32 v20, 9, v18
	v_and_b32_e32 v18, 63, v26
	v_add_u32_e32 v56, v26, v123
	v_lshl_add_u32 v23, v18, 3, 0
	v_lshrrev_b32_e32 v18, 3, v26
	v_lshrrev_b32_e32 v27, 9, v26
	v_and_b32_e32 v26, 63, v56
	v_lshl_add_u32 v34, v26, 3, 0
	v_lshrrev_b32_e32 v26, 3, v56
	v_and_b32_e32 v26, 0x1f8, v26
	v_add_u32_e32 v35, s6, v26
	v_lshrrev_b32_e32 v26, 9, v56
	v_add_u32_e32 v56, v56, v123
	v_and_b32_e32 v12, 0x1f8, v12
	v_and_b32_e32 v19, 0x1f8, v19
	v_and_b32_e32 v20, 0x1f8, v20
	v_and_b32_e32 v18, 0x1f8, v18
	v_and_b32_e32 v27, 0x1f8, v27
	v_and_b32_e32 v26, 0x1f8, v26
	v_lshrrev_b32_e32 v58, 3, v56
	v_add_u32_e32 v64, v56, v123
	v_lshl_add_u32 v11, v11, 3, 0
	v_add_u32_e32 v16, s6, v12
	v_lshl_add_u32 v17, v10, 3, 0
	v_add_u32_e32 v19, s6, v19
	v_add_u32_e32 v22, s6, v20
	v_add_u32_e32 v24, s6, v18
	v_add_u32_e32 v27, s6, v27
	v_add_u32_e32 v57, s6, v26
	v_and_b32_e32 v58, 0x1f8, v58
	v_add_u32_e32 v72, v64, v123
	ds_read_b64 v[12:13], v11 offset:14976
	ds_read_b64 v[14:15], v14 offset:512
	ds_read_b64 v[10:11], v16 offset:1024
	ds_read_b64 v[16:17], v17 offset:14976
	ds_read_b64 v[20:21], v19 offset:512
	ds_read_b64 v[18:19], v22 offset:1024
	ds_read_b64 v[22:23], v23 offset:14976
	ds_read_b64 v[24:25], v24 offset:512
	ds_read_b64 v[26:27], v27 offset:1024
	ds_read_b64 v[52:53], v34 offset:14976
	ds_read_b64 v[54:55], v35 offset:512
	ds_read_b64 v[34:35], v57 offset:1024
	v_and_b32_e32 v57, 63, v56
	v_add_u32_e32 v60, s6, v58
	v_lshrrev_b32_e32 v58, 9, v56
	v_and_b32_e32 v56, 63, v64
	v_lshrrev_b32_e32 v65, 3, v64
	v_lshrrev_b32_e32 v66, 9, v64
	v_and_b32_e32 v64, 63, v72
	v_add_u32_e32 v80, v72, v123
	v_lshl_add_u32 v69, v64, 3, 0
	v_lshrrev_b32_e32 v64, 3, v72
	v_lshrrev_b32_e32 v73, 9, v72
	v_and_b32_e32 v72, 63, v80
	v_lshl_add_u32 v74, v72, 3, 0
	v_lshrrev_b32_e32 v72, 3, v80
	v_and_b32_e32 v72, 0x1f8, v72
	v_add_u32_e32 v75, s6, v72
	v_lshrrev_b32_e32 v72, 9, v80
	v_add_u32_e32 v80, v80, v123
	v_and_b32_e32 v58, 0x1f8, v58
	v_and_b32_e32 v65, 0x1f8, v65
	v_and_b32_e32 v66, 0x1f8, v66
	v_and_b32_e32 v64, 0x1f8, v64
	v_and_b32_e32 v73, 0x1f8, v73
	v_and_b32_e32 v72, 0x1f8, v72
	v_lshrrev_b32_e32 v82, 3, v80
	v_add_u32_e32 v88, v80, v123
	v_lshl_add_u32 v57, v57, 3, 0
	v_add_u32_e32 v62, s6, v58
	v_lshl_add_u32 v63, v56, 3, 0
	v_add_u32_e32 v65, s6, v65
	v_add_u32_e32 v68, s6, v66
	v_add_u32_e32 v70, s6, v64
	v_add_u32_e32 v73, s6, v73
	v_add_u32_e32 v81, s6, v72
	v_and_b32_e32 v82, 0x1f8, v82
	v_add_u32_e32 v96, v88, v123
	ds_read_b64 v[58:59], v57 offset:14976
	ds_read_b64 v[60:61], v60 offset:512
	ds_read_b64 v[56:57], v62 offset:1024
	ds_read_b64 v[62:63], v63 offset:14976
	ds_read_b64 v[66:67], v65 offset:512
	ds_read_b64 v[64:65], v68 offset:1024
	ds_read_b64 v[68:69], v69 offset:14976
	ds_read_b64 v[70:71], v70 offset:512
	ds_read_b64 v[72:73], v73 offset:1024
	ds_read_b64 v[76:77], v74 offset:14976
	ds_read_b64 v[78:79], v75 offset:512
	ds_read_b64 v[74:75], v81 offset:1024
	;; [unrolled: 48-line block ×3, first 2 shown]
	v_and_b32_e32 v107, 63, v106
	v_add_u32_e32 v110, s6, v108
	v_lshrrev_b32_e32 v108, 9, v106
	v_and_b32_e32 v106, 63, v114
	v_lshrrev_b32_e32 v115, 3, v114
	v_lshrrev_b32_e32 v116, 9, v114
	v_and_b32_e32 v114, 63, v124
	v_lshl_add_u32 v119, v114, 3, 0
	v_lshrrev_b32_e32 v114, 3, v124
	v_lshrrev_b32_e32 v125, 9, v124
	v_add_u32_e32 v123, v124, v123
	v_and_b32_e32 v108, 0x1f8, v108
	v_and_b32_e32 v115, 0x1f8, v115
	;; [unrolled: 1-line block ×6, first 2 shown]
	v_lshrrev_b32_e32 v126, 3, v123
	v_lshrrev_b32_e32 v123, 9, v123
	v_lshl_add_u32 v107, v107, 3, 0
	v_add_u32_e32 v112, s6, v108
	v_lshl_add_u32 v113, v106, 3, 0
	v_add_u32_e32 v115, s6, v115
	v_add_u32_e32 v118, s6, v116
	;; [unrolled: 1-line block ×4, first 2 shown]
	v_and_b32_e32 v126, 0x1f8, v126
	v_and_b32_e32 v123, 0x1f8, v123
	ds_read_b64 v[108:109], v107 offset:14976
	ds_read_b64 v[110:111], v110 offset:512
	;; [unrolled: 1-line block ×8, first 2 shown]
	v_lshl_add_u32 v124, v124, 3, 0
	v_add_u32_e32 v128, s6, v126
	v_add_u32_e32 v123, s6, v123
	ds_read_b64 v[126:127], v125 offset:1024
	ds_read_b64 v[132:133], v124 offset:14976
	;; [unrolled: 1-line block ×4, first 2 shown]
	s_waitcnt lgkmcnt(0)
	s_barrier
	s_and_saveexec_b64 s[6:7], vcc
	s_cbranch_execz .LBB0_21
; %bb.20:
	v_mul_i32_i24_e32 v122, 15, v122
	v_mov_b32_e32 v123, 0
	v_lshl_add_u64 v[142:143], v[122:123], 3, s[26:27]
	global_load_dwordx2 v[124:125], v[142:143], off offset:112
	global_load_dwordx4 v[138:141], v[142:143], off offset:96
	global_load_dwordx4 v[152:155], v[142:143], off offset:80
	global_load_dwordx4 v[156:159], v[142:143], off
	global_load_dwordx4 v[160:163], v[142:143], off offset:64
	v_mov_b32_e32 v128, v105
	v_mov_b32_e32 v129, v104
	;; [unrolled: 1-line block ×8, first 2 shown]
	s_waitcnt vmcnt(4)
	v_mov_b32_e32 v122, v125
	v_pk_mul_f32 v[122:123], v[128:129], v[122:123]
	s_waitcnt vmcnt(0)
	v_mov_b32_e32 v172, v163
	v_pk_fma_f32 v[122:123], v[104:105], v[124:125], v[122:123]
	v_pk_mul_f32 v[104:105], v[128:129], v[124:125]
	v_mov_b32_e32 v173, v162
	v_mov_b32_e32 v5, v104
	v_pk_fma_f32 v[124:125], v[128:129], v[124:125], v[4:5] neg_lo:[1,0,0] neg_hi:[1,0,0]
	v_mov_b32_e32 v104, v139
	v_mov_b32_e32 v124, v141
	v_pk_mul_f32 v[104:105], v[164:165], v[104:105]
	v_pk_mul_f32 v[128:129], v[136:137], v[124:125]
	v_pk_fma_f32 v[104:105], v[4:5], v[138:139], v[104:105]
	v_pk_fma_f32 v[4:5], v[6:7], v[140:141], v[128:129]
	v_pk_mul_f32 v[6:7], v[42:43], v[152:153] op_sel:[0,1] op_sel_hi:[1,0]
	v_pk_mul_f32 v[128:129], v[166:167], v[152:153] op_sel:[0,1] op_sel_hi:[1,0]
	v_mov_b32_e32 v5, v6
	v_pk_fma_f32 v[128:129], v[42:43], v[152:153], v[128:129]
	v_pk_fma_f32 v[42:43], v[42:43], v[152:153], v[4:5] op_sel:[0,1,0] op_sel_hi:[1,0,1] neg_lo:[0,0,1] neg_hi:[0,0,1]
	v_pk_mul_f32 v[152:153], v[136:137], v[140:141]
	v_mov_b32_e32 v166, v155
	v_mov_b32_e32 v5, v152
	v_pk_fma_f32 v[136:137], v[136:137], v[140:141], v[4:5] neg_lo:[1,0,0] neg_hi:[1,0,0]
	v_pk_mul_f32 v[140:141], v[164:165], v[138:139]
	v_mov_b32_e32 v167, v154
	v_mov_b32_e32 v5, v140
	;; [unrolled: 1-line block ×3, first 2 shown]
	v_pk_fma_f32 v[140:141], v[164:165], v[138:139], v[4:5] neg_lo:[1,0,0] neg_hi:[1,0,0]
	v_pk_mul_f32 v[138:139], v[30:31], v[156:157] op_sel:[0,1] op_sel_hi:[1,0]
	v_mov_b32_e32 v124, v33
	v_pk_mul_f32 v[6:7], v[168:169], v[166:167]
	v_pk_mul_f32 v[164:165], v[42:43], v[156:157] op_sel:[0,1] op_sel_hi:[1,0]
	v_mov_b32_e32 v5, v138
	v_mov_b32_e32 v168, v159
	;; [unrolled: 1-line block ×3, first 2 shown]
	v_pk_fma_f32 v[138:139], v[30:31], v[156:157], v[164:165]
	v_pk_fma_f32 v[164:165], v[30:31], v[156:157], v[4:5] op_sel:[0,1,0] op_sel_hi:[1,0,1] neg_lo:[0,0,1] neg_hi:[0,0,1]
	v_pk_mul_f32 v[30:31], v[124:125], v[168:169]
	v_mov_b32_e32 v42, v45
	v_pk_fma_f32 v[30:31], v[32:33], v[158:159], v[30:31]
	v_pk_mul_f32 v[156:157], v[44:45], v[160:161] op_sel:[0,1] op_sel_hi:[1,0]
	v_pk_mul_f32 v[158:159], v[42:43], v[160:161] op_sel:[0,1] op_sel_hi:[1,0]
	v_mov_b32_e32 v42, v39
	v_mov_b32_e32 v5, v156
	v_pk_mul_f32 v[156:157], v[42:43], v[172:173]
	v_pk_fma_f32 v[6:7], v[2:3], v[154:155], v[6:7]
	v_pk_fma_f32 v[174:175], v[38:39], v[162:163], v[156:157]
	v_pk_mul_f32 v[156:157], v[2:3], v[166:167]
	global_load_dwordx4 v[152:155], v[142:143], off offset:16
	v_pk_fma_f32 v[170:171], v[44:45], v[160:161], v[158:159]
	v_pk_fma_f32 v[44:45], v[44:45], v[160:161], v[4:5] op_sel:[0,1,0] op_sel_hi:[1,0,1] neg_lo:[0,0,1] neg_hi:[0,0,1]
	v_mov_b32_e32 v5, v156
	global_load_dwordx4 v[156:159], v[142:143], off offset:32
	global_load_dwordx4 v[160:163], v[142:143], off offset:48
	v_pk_fma_f32 v[166:167], v[2:3], v[166:167], v[4:5] neg_lo:[0,0,1] neg_hi:[0,0,1]
	v_pk_mul_f32 v[2:3], v[32:33], v[168:169]
	v_mov_b32_e32 v42, v41
	v_mov_b32_e32 v3, v2
	v_pk_fma_f32 v[168:169], v[32:33], v[168:169], v[2:3] neg_lo:[0,0,1] neg_hi:[0,0,1]
	v_pk_mul_f32 v[2:3], v[38:39], v[172:173]
	v_mul_f32_e32 v5, v132, v135
	v_mov_b32_e32 v3, v2
	v_pk_fma_f32 v[142:143], v[38:39], v[172:173], v[2:3] neg_lo:[0,0,1] neg_hi:[0,0,1]
	v_mov_b32_e32 v2, v47
	v_mov_b32_e32 v38, v51
	v_fmac_f32_e32 v5, v133, v134
	v_mov_b32_e32 v123, v125
	v_mov_b32_e32 v129, v43
	;; [unrolled: 1-line block ×8, first 2 shown]
	s_waitcnt vmcnt(1)
	v_pk_mul_f32 v[2:3], v[2:3], v[156:157] op_sel:[0,1] op_sel_hi:[1,0]
	v_pk_mul_f32 v[32:33], v[46:47], v[156:157] op_sel:[0,1] op_sel_hi:[1,0]
	v_pk_fma_f32 v[2:3], v[46:47], v[156:157], v[2:3]
	s_waitcnt vmcnt(0)
	v_pk_mul_f32 v[38:39], v[38:39], v[160:161] op_sel:[0,1] op_sel_hi:[1,0]
	v_mov_b32_e32 v3, v32
	v_pk_fma_f32 v[46:47], v[46:47], v[156:157], v[2:3] op_sel:[0,1,0] op_sel_hi:[1,0,1] neg_lo:[0,0,1] neg_hi:[0,0,1]
	v_mov_b32_e32 v156, v159
	v_mov_b32_e32 v157, v158
	;; [unrolled: 1-line block ×3, first 2 shown]
	v_pk_mul_f32 v[32:33], v[32:33], v[156:157]
	v_pk_fma_f32 v[38:39], v[50:51], v[160:161], v[38:39]
	v_pk_fma_f32 v[32:33], v[48:49], v[158:159], v[32:33]
	v_pk_mul_f32 v[158:159], v[50:51], v[160:161] op_sel:[0,1] op_sel_hi:[1,0]
	s_nop 0
	v_mov_b32_e32 v3, v158
	v_mov_b32_e32 v158, v163
	;; [unrolled: 1-line block ×3, first 2 shown]
	v_pk_fma_f32 v[50:51], v[50:51], v[160:161], v[2:3] op_sel:[0,1,0] op_sel_hi:[1,0,1] neg_lo:[0,0,1] neg_hi:[0,0,1]
	v_pk_mul_f32 v[160:161], v[42:43], v[158:159]
	v_mov_b32_e32 v39, v51
	v_pk_fma_f32 v[160:161], v[40:41], v[162:163], v[160:161]
	v_pk_mul_f32 v[162:163], v[40:41], v[158:159]
	s_nop 0
	v_mov_b32_e32 v3, v162
	v_pk_fma_f32 v[40:41], v[40:41], v[158:159], v[2:3] neg_lo:[0,0,1] neg_hi:[0,0,1]
	v_pk_mul_f32 v[158:159], v[0:1], v[152:153] op_sel:[0,1] op_sel_hi:[1,0]
	v_mov_b32_e32 v40, v1
	v_mov_b32_e32 v3, v158
	v_pk_mul_f32 v[162:163], v[40:41], v[152:153] op_sel:[0,1] op_sel_hi:[1,0]
	v_pk_fma_f32 v[158:159], v[0:1], v[152:153], v[2:3] op_sel:[0,1,0] op_sel_hi:[1,0,1] neg_lo:[0,0,1] neg_hi:[0,0,1]
	v_pk_fma_f32 v[0:1], v[0:1], v[152:153], v[162:163]
	v_mov_b32_e32 v152, v155
	v_mov_b32_e32 v153, v154
	;; [unrolled: 1-line block ×3, first 2 shown]
	v_pk_mul_f32 v[162:163], v[40:41], v[152:153]
	v_mov_b32_e32 v161, v41
	v_pk_fma_f32 v[154:155], v[36:37], v[154:155], v[162:163]
	v_pk_mul_f32 v[162:163], v[48:49], v[156:157]
	s_nop 0
	v_mov_b32_e32 v1, v162
	v_pk_fma_f32 v[48:49], v[48:49], v[156:157], v[0:1] neg_lo:[0,0,1] neg_hi:[0,0,1]
	v_mul_f32_e32 v1, v133, v135
	v_fma_f32 v3, v132, v134, -v1
	v_mul_f32_e32 v1, v5, v131
	v_pk_mul_f32 v[132:133], v[36:37], v[152:153]
	v_fma_f32 v40, v130, v3, -v1
	v_mov_b32_e32 v1, v132
	v_pk_fma_f32 v[36:37], v[36:37], v[152:153], v[0:1] neg_lo:[0,0,1] neg_hi:[0,0,1]
	v_mul_f32_e32 v1, v119, v121
	v_mul_f32_e32 v36, v3, v131
	v_mul_f32_e32 v3, v118, v121
	v_fma_f32 v1, v118, v120, -v1
	v_fmac_f32_e32 v3, v119, v120
	v_fmac_f32_e32 v36, v130, v5
	v_mul_f32_e32 v5, v3, v127
	v_mul_f32_e32 v44, v1, v127
	v_fma_f32 v42, v126, v1, -v5
	v_fmac_f32_e32 v44, v126, v3
	v_mul_f32_e32 v1, v113, v117
	v_mul_f32_e32 v3, v112, v117
	v_fma_f32 v1, v112, v116, -v1
	;; [unrolled: 4-line block ×20, first 2 shown]
	v_fmac_f32_e32 v3, v59, v60
	v_mul_f32_e32 v5, v3, v57
	v_mul_f32_e32 v57, v1, v57
	v_fmac_f32_e32 v57, v56, v3
	v_mul_f32_e32 v3, v52, v55
	v_fma_f32 v58, v56, v1, -v5
	v_mul_f32_e32 v1, v53, v55
	v_fmac_f32_e32 v3, v53, v54
	v_fma_f32 v1, v52, v54, -v1
	v_mul_f32_e32 v5, v3, v35
	v_fma_f32 v52, v34, v1, -v5
	v_mul_f32_e32 v53, v1, v35
	v_mul_f32_e32 v1, v23, v25
	v_fmac_f32_e32 v53, v34, v3
	v_fma_f32 v1, v22, v24, -v1
	v_mul_f32_e32 v3, v22, v25
	v_fmac_f32_e32 v3, v23, v24
	v_mul_f32_e32 v55, v1, v27
	v_mul_f32_e32 v5, v3, v27
	v_fmac_f32_e32 v55, v26, v3
	v_mul_f32_e32 v3, v16, v21
	v_fma_f32 v54, v26, v1, -v5
	v_mul_f32_e32 v1, v17, v21
	v_fmac_f32_e32 v3, v17, v20
	v_fma_f32 v1, v16, v20, -v1
	v_mul_f32_e32 v5, v3, v19
	v_fma_f32 v56, v18, v1, -v5
	v_mul_f32_e32 v59, v1, v19
	v_mul_f32_e32 v1, v12, v14
	v_fma_f32 v1, -v13, v15, v1
	v_pk_mul_f32 v[12:13], v[12:13], v[14:15] op_sel:[1,0] op_sel_hi:[0,1]
	v_fmac_f32_e32 v59, v18, v3
	v_add_f32_e32 v3, v12, v13
	v_mul_f32_e32 v5, v3, v11
	v_mul_f32_e32 v14, v1, v11
	v_fma_f32 v12, v10, v1, -v5
	v_fmac_f32_e32 v14, v10, v3
	v_mov_b32_e32 v1, v159
	v_mov_b32_e32 v3, v47
	;; [unrolled: 1-line block ×5, first 2 shown]
	v_pk_add_f32 v[10:11], v[38:39], v[122:123] neg_lo:[0,1] neg_hi:[0,1]
	v_pk_add_f32 v[16:17], v[0:1], v[128:129] neg_lo:[0,1] neg_hi:[0,1]
	;; [unrolled: 1-line block ×8, first 2 shown]
	v_add_f32_e32 v45, v16, v11
	v_add_f32_e32 v49, v22, v5
	;; [unrolled: 1-line block ×4, first 2 shown]
	v_sub_f32_e32 v13, v17, v10
	v_sub_f32_e32 v15, v21, v18
	;; [unrolled: 1-line block ×4, first 2 shown]
	v_fmamk_f32 v61, v45, 0x3f3504f3, v60
	v_fmamk_f32 v65, v49, 0x3f3504f3, v64
	;; [unrolled: 1-line block ×4, first 2 shown]
	v_fmac_f32_e32 v61, 0x3f3504f3, v13
	v_fmac_f32_e32 v65, 0x3f3504f3, v47
	;; [unrolled: 1-line block ×4, first 2 shown]
	v_fmamk_f32 v66, v61, 0x3f6c835e, v65
	v_fmamk_f32 v51, v43, 0x3f6c835e, v41
	v_fmac_f32_e32 v66, 0x3ec3ef15, v43
	v_pk_fma_f32 v[0:1], v[0:1], 2.0, v[16:17] op_sel_hi:[1,0,1] neg_lo:[0,0,1] neg_hi:[0,0,1]
	v_pk_fma_f32 v[10:11], v[38:39], 2.0, v[10:11] op_sel_hi:[1,0,1] neg_lo:[0,0,1] neg_hi:[0,0,1]
	v_pk_fma_f32 v[34:35], v[138:139], 2.0, v[20:21] op_sel_hi:[1,0,1] neg_lo:[0,0,1] neg_hi:[0,0,1]
	v_pk_fma_f32 v[2:3], v[2:3], 2.0, v[18:19] op_sel_hi:[1,0,1] neg_lo:[0,0,1] neg_hi:[0,0,1]
	v_pk_fma_f32 v[18:19], v[30:31], 2.0, v[22:23] op_sel_hi:[1,0,1] neg_lo:[0,0,1] neg_hi:[0,0,1]
	v_pk_fma_f32 v[4:5], v[32:33], 2.0, v[4:5] op_sel_hi:[1,0,1] neg_lo:[0,0,1] neg_hi:[0,0,1]
	v_pk_fma_f32 v[8:9], v[8:9], 2.0, v[24:25] op_sel_hi:[1,0,1] neg_lo:[0,0,1] neg_hi:[0,0,1]
	v_pk_fma_f32 v[6:7], v[154:155], 2.0, v[6:7] op_sel_hi:[1,0,1] neg_lo:[0,0,1] neg_hi:[0,0,1]
	v_fmac_f32_e32 v51, 0xbec3ef15, v61
	v_mul_f32_e32 v26, v66, v36
	v_pk_add_f32 v[10:11], v[0:1], v[10:11] neg_lo:[0,1] neg_hi:[0,1]
	v_pk_add_f32 v[2:3], v[34:35], v[2:3] neg_lo:[0,1] neg_hi:[0,1]
	;; [unrolled: 1-line block ×4, first 2 shown]
	v_fma_f32 v27, v51, v40, -v26
	v_mul_f32_e32 v26, v51, v36
	v_add_f32_e32 v38, v2, v11
	v_add_f32_e32 v39, v6, v5
	v_fmac_f32_e32 v26, v66, v40
	v_sub_f32_e32 v36, v3, v10
	v_sub_f32_e32 v32, v7, v4
	v_fmamk_f32 v40, v38, 0x3f3504f3, v39
	v_fmamk_f32 v33, v36, 0x3f3504f3, v32
	v_fmac_f32_e32 v40, 0x3f3504f3, v36
	v_fmac_f32_e32 v33, 0xbf3504f3, v38
	v_mul_f32_e32 v30, v40, v44
	v_fma_f32 v31, v33, v42, -v30
	v_mul_f32_e32 v30, v33, v44
	v_fmac_f32_e32 v30, v40, v42
	v_fma_f32 v42, v21, 2.0, -v15
	v_fma_f32 v16, v16, 2.0, -v45
	;; [unrolled: 1-line block ×6, first 2 shown]
	v_fmamk_f32 v23, v16, 0xbf3504f3, v22
	v_fmamk_f32 v44, v13, 0xbf3504f3, v42
	v_fmac_f32_e32 v23, 0x3f3504f3, v13
	v_fma_f32 v13, v24, 2.0, -v64
	v_fma_f32 v25, v25, 2.0, -v37
	v_fmamk_f32 v49, v21, 0xbf3504f3, v13
	v_fmamk_f32 v45, v17, 0xbf3504f3, v25
	v_fmac_f32_e32 v49, 0x3f3504f3, v17
	v_fmac_f32_e32 v44, 0xbf3504f3, v16
	;; [unrolled: 1-line block ×3, first 2 shown]
	v_fmamk_f32 v67, v23, 0x3ec3ef15, v49
	v_fmamk_f32 v47, v44, 0x3ec3ef15, v45
	v_fmac_f32_e32 v67, 0x3f6c835e, v44
	v_fmac_f32_e32 v47, 0xbf6c835e, v23
	v_mul_f32_e32 v16, v67, v48
	v_fma_f32 v17, v47, v46, -v16
	v_mul_f32_e32 v16, v47, v48
	v_pk_fma_f32 v[20:21], v[34:35], 2.0, v[2:3] op_sel_hi:[1,0,1] neg_lo:[0,0,1] neg_hi:[0,0,1]
	v_pk_fma_f32 v[0:1], v[0:1], 2.0, v[10:11] op_sel_hi:[1,0,1] neg_lo:[0,0,1] neg_hi:[0,0,1]
	;; [unrolled: 1-line block ×4, first 2 shown]
	v_fmac_f32_e32 v16, v67, v46
	v_pk_add_f32 v[0:1], v[20:21], v[0:1] neg_lo:[0,1] neg_hi:[0,1]
	v_pk_add_f32 v[4:5], v[8:9], v[4:5] neg_lo:[0,1] neg_hi:[0,1]
	v_fma_f32 v18, v60, 2.0, -v61
	v_fma_f32 v46, v64, 2.0, -v65
	v_add_f32_e32 v35, v4, v1
	v_fma_f32 v37, v37, 2.0, -v41
	v_fma_f32 v15, v15, 2.0, -v43
	v_fmamk_f32 v48, v18, 0xbec3ef15, v46
	v_sub_f32_e32 v34, v5, v0
	v_mul_f32_e32 v10, v35, v107
	v_fmamk_f32 v43, v15, 0xbec3ef15, v37
	v_fmac_f32_e32 v48, 0x3f6c835e, v15
	v_fma_f32 v11, v34, v50, -v10
	v_mul_f32_e32 v10, v34, v107
	v_fmac_f32_e32 v43, 0xbf6c835e, v18
	v_mul_f32_e32 v15, v48, v99
	v_fma_f32 v24, v65, 2.0, -v66
	v_fmac_f32_e32 v10, v35, v50
	v_fma_f32 v19, v43, v100, -v15
	v_fma_f32 v15, v7, 2.0, -v32
	v_fma_f32 v2, v2, 2.0, -v38
	;; [unrolled: 1-line block ×5, first 2 shown]
	v_mul_f32_e32 v23, v24, v75
	v_fma_f32 v35, v4, 2.0, -v35
	v_fma_f32 v3, v3, 2.0, -v36
	v_fmamk_f32 v50, v2, 0xbf3504f3, v38
	v_pk_fma_f32 v[8:9], v[8:9], 2.0, v[4:5] op_sel_hi:[1,0,1] neg_lo:[0,0,1] neg_hi:[0,0,1]
	v_pk_fma_f32 v[0:1], v[20:21], 2.0, v[0:1] op_sel_hi:[1,0,1] neg_lo:[0,0,1] neg_hi:[0,0,1]
	v_fma_f32 v23, v22, v76, -v23
	v_mul_f32_e32 v22, v22, v75
	v_fma_f32 v34, v5, 2.0, -v34
	v_mul_f32_e32 v4, v35, v57
	v_fmamk_f32 v36, v3, 0xbf3504f3, v15
	v_fmac_f32_e32 v50, 0x3f3504f3, v3
	v_fma_f32 v60, v25, 2.0, -v45
	v_fma_f32 v6, v42, 2.0, -v44
	;; [unrolled: 1-line block ×3, first 2 shown]
	v_pk_add_f32 v[0:1], v[8:9], v[0:1] neg_lo:[0,1] neg_hi:[0,1]
	v_fmac_f32_e32 v22, v24, v76
	v_fma_f32 v24, v32, 2.0, -v33
	v_fma_f32 v32, v39, 2.0, -v40
	v_fma_f32 v5, v34, v58, -v4
	v_mul_f32_e32 v4, v34, v57
	v_fma_f32 v34, v37, 2.0, -v43
	v_fma_f32 v37, v46, 2.0, -v48
	v_fmac_f32_e32 v36, 0xbf3504f3, v2
	v_mul_f32_e32 v2, v50, v93
	v_fmamk_f32 v42, v6, 0xbf6c835e, v60
	v_fmamk_f32 v44, v7, 0xbf6c835e, v13
	v_mul_f32_e32 v20, v0, v81
	v_mul_f32_e32 v25, v32, v69
	v_fmac_f32_e32 v4, v35, v58
	v_mul_f32_e32 v35, v37, v53
	v_fma_f32 v38, v38, 2.0, -v50
	v_fma_f32 v3, v36, v92, -v2
	v_mul_f32_e32 v2, v36, v93
	v_fmac_f32_e32 v42, 0xbec3ef15, v7
	v_fmac_f32_e32 v44, 0x3ec3ef15, v6
	v_fma_f32 v21, v1, v82, -v20
	v_mul_f32_e32 v20, v1, v81
	v_fma_f32 v25, v24, v68, -v25
	v_mul_f32_e32 v24, v24, v69
	v_fma_f32 v39, v49, 2.0, -v67
	v_fma_f32 v35, v34, v52, -v35
	v_mul_f32_e32 v34, v34, v53
	v_fma_f32 v15, v15, 2.0, -v36
	v_mul_f32_e32 v36, v38, v55
	v_fmac_f32_e32 v20, v0, v82
	v_fmac_f32_e32 v24, v32, v68
	v_fma_f32 v32, v45, 2.0, -v47
	v_mul_f32_e32 v33, v39, v63
	v_fmac_f32_e32 v34, v37, v52
	v_fma_f32 v37, v15, v54, -v36
	v_mul_f32_e32 v36, v15, v55
	v_fma_f32 v15, v60, 2.0, -v42
	v_fma_f32 v13, v13, 2.0, -v44
	v_pk_fma_f32 v[0:1], v[8:9], 2.0, v[0:1] op_sel_hi:[1,0,1] neg_lo:[0,0,1] neg_hi:[0,0,1]
	v_fma_f32 v33, v32, v62, -v33
	v_mul_f32_e32 v32, v32, v63
	v_fmac_f32_e32 v36, v38, v54
	v_mul_f32_e32 v38, v13, v59
	v_pk_mul_f32 v[8:9], v[14:15], v[0:1] op_sel_hi:[0,1]
	v_mul_f32_e32 v6, v44, v87
	v_fmac_f32_e32 v32, v39, v62
	v_fma_f32 v39, v15, v56, -v38
	v_mul_f32_e32 v38, v15, v59
	v_pk_fma_f32 v[14:15], v[12:13], v[0:1], v[8:9] op_sel:[0,0,1] op_sel_hi:[1,1,0]
	v_pk_fma_f32 v[0:1], v[12:13], v[0:1], v[8:9] op_sel:[0,0,1] op_sel_hi:[0,1,0] neg_lo:[0,0,1] neg_hi:[0,0,1]
	v_mul_f32_e32 v18, v43, v99
	v_fma_f32 v7, v42, v86, -v6
	v_mul_f32_e32 v6, v42, v87
	v_mov_b32_e32 v15, v1
	v_fmac_f32_e32 v18, v48, v100
	v_fmac_f32_e32 v2, v50, v92
	;; [unrolled: 1-line block ×4, first 2 shown]
	ds_write_b64 v150, v[14:15]
	ds_write2_b64 v29, v[38:39], v[36:37] offset0:13 offset1:26
	ds_write2_b64 v29, v[34:35], v[4:5] offset0:39 offset1:52
	;; [unrolled: 1-line block ×7, first 2 shown]
	ds_write_b64 v29, v[26:27] offset:1560
.LBB0_21:
	s_or_b64 exec, exec, s[6:7]
	s_waitcnt lgkmcnt(0)
	s_barrier
	s_and_saveexec_b64 s[6:7], s[0:1]
	s_cbranch_execz .LBB0_23
; %bb.22:
	s_mul_i32 s0, s3, s24
	s_mul_hi_u32 s1, s2, s24
	s_add_i32 s1, s1, s0
	s_mul_i32 s0, s2, s24
	v_mad_u64_u32 v[4:5], s[2:3], s18, v28, 0
	v_mov_b32_e32 v0, v5
	v_mad_u64_u32 v[0:1], s[2:3], s19, v28, v[0:1]
	v_mad_u64_u32 v[6:7], s[2:3], s16, v144, 0
	v_mov_b32_e32 v5, v0
	v_mov_b32_e32 v0, v7
	v_mad_u64_u32 v[0:1], s[2:3], s17, v144, v[0:1]
	s_movk_i32 s2, 0x680
	v_mov_b32_e32 v7, v0
	v_mul_lo_u32 v0, v28, s2
	s_lshl_b64 s[0:1], s[0:1], 3
	v_add3_u32 v10, 0, v0, v149
	s_add_u32 s2, s14, s0
	s_addc_u32 s3, s15, s1
	s_lshl_b64 s[0:1], s[4:5], 3
	ds_read2_b64 v[0:3], v10 offset1:16
	s_add_u32 s0, s2, s0
	s_addc_u32 s1, s3, s1
	v_lshl_add_u64 v[4:5], v[4:5], 3, s[0:1]
	v_lshl_add_u64 v[6:7], v[6:7], 3, v[4:5]
	s_waitcnt lgkmcnt(0)
	global_store_dwordx2 v[6:7], v[0:1], off
	v_mad_u64_u32 v[0:1], s[0:1], s16, v148, 0
	v_mov_b32_e32 v6, v1
	v_mad_u64_u32 v[6:7], s[0:1], s17, v148, v[6:7]
	v_mov_b32_e32 v1, v6
	v_lshl_add_u64 v[0:1], v[0:1], 3, v[4:5]
	global_store_dwordx2 v[0:1], v[2:3], off
	v_mad_u64_u32 v[6:7], s[0:1], s16, v147, 0
	ds_read2_b64 v[0:3], v10 offset0:32 offset1:48
	v_mov_b32_e32 v8, v7
	v_mad_u64_u32 v[8:9], s[0:1], s17, v147, v[8:9]
	v_mov_b32_e32 v7, v8
	v_lshl_add_u64 v[6:7], v[6:7], 3, v[4:5]
	s_waitcnt lgkmcnt(0)
	global_store_dwordx2 v[6:7], v[0:1], off
	v_mad_u64_u32 v[0:1], s[0:1], s16, v146, 0
	v_mov_b32_e32 v6, v1
	v_mad_u64_u32 v[6:7], s[0:1], s17, v146, v[6:7]
	v_mov_b32_e32 v1, v6
	v_lshl_add_u64 v[0:1], v[0:1], 3, v[4:5]
	global_store_dwordx2 v[0:1], v[2:3], off
	v_mad_u64_u32 v[6:7], s[0:1], s16, v145, 0
	ds_read2_b64 v[0:3], v10 offset0:64 offset1:80
	v_mov_b32_e32 v8, v7
	v_mad_u64_u32 v[8:9], s[0:1], s17, v145, v[8:9]
	v_mov_b32_e32 v7, v8
	v_lshl_add_u64 v[6:7], v[6:7], 3, v[4:5]
	s_waitcnt lgkmcnt(0)
	global_store_dwordx2 v[6:7], v[0:1], off
	v_add_u32_e32 v7, 0x50, v144
	v_mad_u64_u32 v[0:1], s[0:1], s16, v7, 0
	v_mov_b32_e32 v6, v1
	v_mad_u64_u32 v[6:7], s[0:1], s17, v7, v[6:7]
	v_mov_b32_e32 v1, v6
	v_lshl_add_u64 v[0:1], v[0:1], 3, v[4:5]
	v_or_b32_e32 v9, 0x60, v144
	global_store_dwordx2 v[0:1], v[2:3], off
	v_mad_u64_u32 v[6:7], s[0:1], s16, v9, 0
	ds_read2_b64 v[0:3], v10 offset0:96 offset1:112
	v_mov_b32_e32 v8, v7
	v_mad_u64_u32 v[8:9], s[0:1], s17, v9, v[8:9]
	v_mov_b32_e32 v7, v8
	v_lshl_add_u64 v[6:7], v[6:7], 3, v[4:5]
	s_waitcnt lgkmcnt(0)
	global_store_dwordx2 v[6:7], v[0:1], off
	v_add_u32_e32 v7, 0x70, v144
	v_mad_u64_u32 v[0:1], s[0:1], s16, v7, 0
	v_mov_b32_e32 v6, v1
	v_mad_u64_u32 v[6:7], s[0:1], s17, v7, v[6:7]
	v_mov_b32_e32 v1, v6
	v_lshl_add_u64 v[0:1], v[0:1], 3, v[4:5]
	v_or_b32_e32 v9, 0x80, v144
	;; [unrolled: 16-line block ×3, first 2 shown]
	global_store_dwordx2 v[0:1], v[2:3], off
	v_mad_u64_u32 v[6:7], s[0:1], s16, v9, 0
	ds_read2_b64 v[0:3], v10 offset0:160 offset1:176
	v_mov_b32_e32 v8, v7
	v_mad_u64_u32 v[8:9], s[0:1], s17, v9, v[8:9]
	v_mov_b32_e32 v7, v8
	v_lshl_add_u64 v[6:7], v[6:7], 3, v[4:5]
	s_waitcnt lgkmcnt(0)
	global_store_dwordx2 v[6:7], v[0:1], off
	v_add_u32_e32 v7, 0xb0, v144
	v_mad_u64_u32 v[0:1], s[0:1], s16, v7, 0
	v_mov_b32_e32 v6, v1
	v_mad_u64_u32 v[6:7], s[0:1], s17, v7, v[6:7]
	v_mov_b32_e32 v1, v6
	v_lshl_add_u64 v[0:1], v[0:1], 3, v[4:5]
	global_store_dwordx2 v[0:1], v[2:3], off
	v_or_b32_e32 v3, 0xc0, v144
	v_mad_u64_u32 v[0:1], s[0:1], s16, v3, 0
	ds_read_b64 v[6:7], v10 offset:1536
	v_mov_b32_e32 v2, v1
	v_mad_u64_u32 v[2:3], s[0:1], s17, v3, v[2:3]
	v_mov_b32_e32 v1, v2
	v_lshl_add_u64 v[0:1], v[0:1], 3, v[4:5]
	s_waitcnt lgkmcnt(0)
	global_store_dwordx2 v[0:1], v[6:7], off
.LBB0_23:
	s_endpgm
	.section	.rodata,"a",@progbits
	.p2align	6, 0x0
	.amdhsa_kernel fft_rtc_back_len208_factors_13_16_wgs_144_tpt_16_sp_op_CI_CI_sbcc_twdbase6_3step
		.amdhsa_group_segment_fixed_size 0
		.amdhsa_private_segment_fixed_size 0
		.amdhsa_kernarg_size 112
		.amdhsa_user_sgpr_count 2
		.amdhsa_user_sgpr_dispatch_ptr 0
		.amdhsa_user_sgpr_queue_ptr 0
		.amdhsa_user_sgpr_kernarg_segment_ptr 1
		.amdhsa_user_sgpr_dispatch_id 0
		.amdhsa_user_sgpr_kernarg_preload_length 0
		.amdhsa_user_sgpr_kernarg_preload_offset 0
		.amdhsa_user_sgpr_private_segment_size 0
		.amdhsa_uses_dynamic_stack 0
		.amdhsa_enable_private_segment 0
		.amdhsa_system_sgpr_workgroup_id_x 1
		.amdhsa_system_sgpr_workgroup_id_y 0
		.amdhsa_system_sgpr_workgroup_id_z 0
		.amdhsa_system_sgpr_workgroup_info 0
		.amdhsa_system_vgpr_workitem_id 0
		.amdhsa_next_free_vgpr 176
		.amdhsa_next_free_sgpr 55
		.amdhsa_accum_offset 176
		.amdhsa_reserve_vcc 1
		.amdhsa_float_round_mode_32 0
		.amdhsa_float_round_mode_16_64 0
		.amdhsa_float_denorm_mode_32 3
		.amdhsa_float_denorm_mode_16_64 3
		.amdhsa_dx10_clamp 1
		.amdhsa_ieee_mode 1
		.amdhsa_fp16_overflow 0
		.amdhsa_tg_split 0
		.amdhsa_exception_fp_ieee_invalid_op 0
		.amdhsa_exception_fp_denorm_src 0
		.amdhsa_exception_fp_ieee_div_zero 0
		.amdhsa_exception_fp_ieee_overflow 0
		.amdhsa_exception_fp_ieee_underflow 0
		.amdhsa_exception_fp_ieee_inexact 0
		.amdhsa_exception_int_div_zero 0
	.end_amdhsa_kernel
	.text
.Lfunc_end0:
	.size	fft_rtc_back_len208_factors_13_16_wgs_144_tpt_16_sp_op_CI_CI_sbcc_twdbase6_3step, .Lfunc_end0-fft_rtc_back_len208_factors_13_16_wgs_144_tpt_16_sp_op_CI_CI_sbcc_twdbase6_3step
                                        ; -- End function
	.section	.AMDGPU.csdata,"",@progbits
; Kernel info:
; codeLenInByte = 10440
; NumSgprs: 61
; NumVgprs: 176
; NumAgprs: 0
; TotalNumVgprs: 176
; ScratchSize: 0
; MemoryBound: 0
; FloatMode: 240
; IeeeMode: 1
; LDSByteSize: 0 bytes/workgroup (compile time only)
; SGPRBlocks: 7
; VGPRBlocks: 21
; NumSGPRsForWavesPerEU: 61
; NumVGPRsForWavesPerEU: 176
; AccumOffset: 176
; Occupancy: 2
; WaveLimiterHint : 1
; COMPUTE_PGM_RSRC2:SCRATCH_EN: 0
; COMPUTE_PGM_RSRC2:USER_SGPR: 2
; COMPUTE_PGM_RSRC2:TRAP_HANDLER: 0
; COMPUTE_PGM_RSRC2:TGID_X_EN: 1
; COMPUTE_PGM_RSRC2:TGID_Y_EN: 0
; COMPUTE_PGM_RSRC2:TGID_Z_EN: 0
; COMPUTE_PGM_RSRC2:TIDIG_COMP_CNT: 0
; COMPUTE_PGM_RSRC3_GFX90A:ACCUM_OFFSET: 43
; COMPUTE_PGM_RSRC3_GFX90A:TG_SPLIT: 0
	.text
	.p2alignl 6, 3212836864
	.fill 256, 4, 3212836864
	.type	__hip_cuid_724829d56c074cf2,@object ; @__hip_cuid_724829d56c074cf2
	.section	.bss,"aw",@nobits
	.globl	__hip_cuid_724829d56c074cf2
__hip_cuid_724829d56c074cf2:
	.byte	0                               ; 0x0
	.size	__hip_cuid_724829d56c074cf2, 1

	.ident	"AMD clang version 19.0.0git (https://github.com/RadeonOpenCompute/llvm-project roc-6.4.0 25133 c7fe45cf4b819c5991fe208aaa96edf142730f1d)"
	.section	".note.GNU-stack","",@progbits
	.addrsig
	.addrsig_sym __hip_cuid_724829d56c074cf2
	.amdgpu_metadata
---
amdhsa.kernels:
  - .agpr_count:     0
    .args:
      - .actual_access:  read_only
        .address_space:  global
        .offset:         0
        .size:           8
        .value_kind:     global_buffer
      - .address_space:  global
        .offset:         8
        .size:           8
        .value_kind:     global_buffer
      - .offset:         16
        .size:           8
        .value_kind:     by_value
      - .actual_access:  read_only
        .address_space:  global
        .offset:         24
        .size:           8
        .value_kind:     global_buffer
      - .actual_access:  read_only
        .address_space:  global
        .offset:         32
        .size:           8
        .value_kind:     global_buffer
      - .actual_access:  read_only
        .address_space:  global
        .offset:         40
        .size:           8
        .value_kind:     global_buffer
      - .offset:         48
        .size:           8
        .value_kind:     by_value
      - .actual_access:  read_only
        .address_space:  global
        .offset:         56
        .size:           8
        .value_kind:     global_buffer
      - .actual_access:  read_only
        .address_space:  global
        .offset:         64
        .size:           8
        .value_kind:     global_buffer
      - .offset:         72
        .size:           4
        .value_kind:     by_value
      - .actual_access:  read_only
        .address_space:  global
        .offset:         80
        .size:           8
        .value_kind:     global_buffer
      - .actual_access:  read_only
        .address_space:  global
        .offset:         88
        .size:           8
        .value_kind:     global_buffer
      - .actual_access:  read_only
        .address_space:  global
        .offset:         96
        .size:           8
        .value_kind:     global_buffer
      - .actual_access:  write_only
        .address_space:  global
        .offset:         104
        .size:           8
        .value_kind:     global_buffer
    .group_segment_fixed_size: 0
    .kernarg_segment_align: 8
    .kernarg_segment_size: 112
    .language:       OpenCL C
    .language_version:
      - 2
      - 0
    .max_flat_workgroup_size: 144
    .name:           fft_rtc_back_len208_factors_13_16_wgs_144_tpt_16_sp_op_CI_CI_sbcc_twdbase6_3step
    .private_segment_fixed_size: 0
    .sgpr_count:     61
    .sgpr_spill_count: 0
    .symbol:         fft_rtc_back_len208_factors_13_16_wgs_144_tpt_16_sp_op_CI_CI_sbcc_twdbase6_3step.kd
    .uniform_work_group_size: 1
    .uses_dynamic_stack: false
    .vgpr_count:     176
    .vgpr_spill_count: 0
    .wavefront_size: 64
amdhsa.target:   amdgcn-amd-amdhsa--gfx950
amdhsa.version:
  - 1
  - 2
...

	.end_amdgpu_metadata
